;; amdgpu-corpus repo=ROCm/rocFFT kind=compiled arch=gfx1201 opt=O3
	.text
	.amdgcn_target "amdgcn-amd-amdhsa--gfx1201"
	.amdhsa_code_object_version 6
	.protected	fft_rtc_back_len1925_factors_7_11_5_5_wgs_55_tpt_55_halfLds_half_ip_CI_sbrr_dirReg ; -- Begin function fft_rtc_back_len1925_factors_7_11_5_5_wgs_55_tpt_55_halfLds_half_ip_CI_sbrr_dirReg
	.globl	fft_rtc_back_len1925_factors_7_11_5_5_wgs_55_tpt_55_halfLds_half_ip_CI_sbrr_dirReg
	.p2align	8
	.type	fft_rtc_back_len1925_factors_7_11_5_5_wgs_55_tpt_55_halfLds_half_ip_CI_sbrr_dirReg,@function
fft_rtc_back_len1925_factors_7_11_5_5_wgs_55_tpt_55_halfLds_half_ip_CI_sbrr_dirReg: ; @fft_rtc_back_len1925_factors_7_11_5_5_wgs_55_tpt_55_halfLds_half_ip_CI_sbrr_dirReg
; %bb.0:
	s_clause 0x2
	s_load_b64 s[12:13], s[0:1], 0x18
	s_load_b128 s[4:7], s[0:1], 0x0
	s_load_b64 s[10:11], s[0:1], 0x50
	v_mul_u32_u24_e32 v1, 0x4a8, v0
	v_mov_b32_e32 v3, 0
	s_delay_alu instid0(VALU_DEP_2) | instskip(NEXT) | instid1(VALU_DEP_1)
	v_lshrrev_b32_e32 v1, 16, v1
	v_add_nc_u32_e32 v5, ttmp9, v1
	v_mov_b32_e32 v1, 0
	v_mov_b32_e32 v2, 0
	;; [unrolled: 1-line block ×3, first 2 shown]
	s_wait_kmcnt 0x0
	s_load_b64 s[8:9], s[12:13], 0x0
	v_cmp_lt_u64_e64 s2, s[6:7], 2
	s_delay_alu instid0(VALU_DEP_1)
	s_and_b32 vcc_lo, exec_lo, s2
	s_cbranch_vccnz .LBB0_8
; %bb.1:
	s_load_b64 s[2:3], s[0:1], 0x10
	v_mov_b32_e32 v1, 0
	v_mov_b32_e32 v2, 0
	s_add_nc_u64 s[14:15], s[12:13], 8
	s_mov_b64 s[16:17], 1
	s_wait_kmcnt 0x0
	s_add_nc_u64 s[18:19], s[2:3], 8
	s_mov_b32 s3, 0
.LBB0_2:                                ; =>This Inner Loop Header: Depth=1
	s_load_b64 s[20:21], s[18:19], 0x0
                                        ; implicit-def: $vgpr7_vgpr8
	s_mov_b32 s2, exec_lo
	s_wait_kmcnt 0x0
	v_or_b32_e32 v4, s21, v6
	s_delay_alu instid0(VALU_DEP_1)
	v_cmpx_ne_u64_e32 0, v[3:4]
	s_wait_alu 0xfffe
	s_xor_b32 s22, exec_lo, s2
	s_cbranch_execz .LBB0_4
; %bb.3:                                ;   in Loop: Header=BB0_2 Depth=1
	s_cvt_f32_u32 s2, s20
	s_cvt_f32_u32 s23, s21
	s_sub_nc_u64 s[26:27], 0, s[20:21]
	s_wait_alu 0xfffe
	s_delay_alu instid0(SALU_CYCLE_1) | instskip(SKIP_1) | instid1(SALU_CYCLE_2)
	s_fmamk_f32 s2, s23, 0x4f800000, s2
	s_wait_alu 0xfffe
	v_s_rcp_f32 s2, s2
	s_delay_alu instid0(TRANS32_DEP_1) | instskip(SKIP_1) | instid1(SALU_CYCLE_2)
	s_mul_f32 s2, s2, 0x5f7ffffc
	s_wait_alu 0xfffe
	s_mul_f32 s23, s2, 0x2f800000
	s_wait_alu 0xfffe
	s_delay_alu instid0(SALU_CYCLE_2) | instskip(SKIP_1) | instid1(SALU_CYCLE_2)
	s_trunc_f32 s23, s23
	s_wait_alu 0xfffe
	s_fmamk_f32 s2, s23, 0xcf800000, s2
	s_cvt_u32_f32 s25, s23
	s_wait_alu 0xfffe
	s_delay_alu instid0(SALU_CYCLE_1) | instskip(SKIP_1) | instid1(SALU_CYCLE_2)
	s_cvt_u32_f32 s24, s2
	s_wait_alu 0xfffe
	s_mul_u64 s[28:29], s[26:27], s[24:25]
	s_wait_alu 0xfffe
	s_mul_hi_u32 s31, s24, s29
	s_mul_i32 s30, s24, s29
	s_mul_hi_u32 s2, s24, s28
	s_mul_i32 s33, s25, s28
	s_wait_alu 0xfffe
	s_add_nc_u64 s[30:31], s[2:3], s[30:31]
	s_mul_hi_u32 s23, s25, s28
	s_mul_hi_u32 s34, s25, s29
	s_add_co_u32 s2, s30, s33
	s_wait_alu 0xfffe
	s_add_co_ci_u32 s2, s31, s23
	s_mul_i32 s28, s25, s29
	s_add_co_ci_u32 s29, s34, 0
	s_wait_alu 0xfffe
	s_add_nc_u64 s[28:29], s[2:3], s[28:29]
	s_wait_alu 0xfffe
	v_add_co_u32 v4, s2, s24, s28
	s_delay_alu instid0(VALU_DEP_1) | instskip(SKIP_1) | instid1(VALU_DEP_1)
	s_cmp_lg_u32 s2, 0
	s_add_co_ci_u32 s25, s25, s29
	v_readfirstlane_b32 s24, v4
	s_wait_alu 0xfffe
	s_delay_alu instid0(VALU_DEP_1)
	s_mul_u64 s[26:27], s[26:27], s[24:25]
	s_wait_alu 0xfffe
	s_mul_hi_u32 s29, s24, s27
	s_mul_i32 s28, s24, s27
	s_mul_hi_u32 s2, s24, s26
	s_mul_i32 s30, s25, s26
	s_wait_alu 0xfffe
	s_add_nc_u64 s[28:29], s[2:3], s[28:29]
	s_mul_hi_u32 s23, s25, s26
	s_mul_hi_u32 s24, s25, s27
	s_wait_alu 0xfffe
	s_add_co_u32 s2, s28, s30
	s_add_co_ci_u32 s2, s29, s23
	s_mul_i32 s26, s25, s27
	s_add_co_ci_u32 s27, s24, 0
	s_wait_alu 0xfffe
	s_add_nc_u64 s[26:27], s[2:3], s[26:27]
	s_wait_alu 0xfffe
	v_add_co_u32 v4, s2, v4, s26
	s_delay_alu instid0(VALU_DEP_1) | instskip(SKIP_1) | instid1(VALU_DEP_1)
	s_cmp_lg_u32 s2, 0
	s_add_co_ci_u32 s2, s25, s27
	v_mul_hi_u32 v13, v5, v4
	s_wait_alu 0xfffe
	v_mad_co_u64_u32 v[7:8], null, v5, s2, 0
	v_mad_co_u64_u32 v[9:10], null, v6, v4, 0
	;; [unrolled: 1-line block ×3, first 2 shown]
	s_delay_alu instid0(VALU_DEP_3) | instskip(SKIP_1) | instid1(VALU_DEP_4)
	v_add_co_u32 v4, vcc_lo, v13, v7
	s_wait_alu 0xfffd
	v_add_co_ci_u32_e32 v7, vcc_lo, 0, v8, vcc_lo
	s_delay_alu instid0(VALU_DEP_2) | instskip(SKIP_1) | instid1(VALU_DEP_2)
	v_add_co_u32 v4, vcc_lo, v4, v9
	s_wait_alu 0xfffd
	v_add_co_ci_u32_e32 v4, vcc_lo, v7, v10, vcc_lo
	s_wait_alu 0xfffd
	v_add_co_ci_u32_e32 v7, vcc_lo, 0, v12, vcc_lo
	s_delay_alu instid0(VALU_DEP_2) | instskip(SKIP_1) | instid1(VALU_DEP_2)
	v_add_co_u32 v4, vcc_lo, v4, v11
	s_wait_alu 0xfffd
	v_add_co_ci_u32_e32 v9, vcc_lo, 0, v7, vcc_lo
	s_delay_alu instid0(VALU_DEP_2) | instskip(SKIP_1) | instid1(VALU_DEP_3)
	v_mul_lo_u32 v10, s21, v4
	v_mad_co_u64_u32 v[7:8], null, s20, v4, 0
	v_mul_lo_u32 v11, s20, v9
	s_delay_alu instid0(VALU_DEP_2) | instskip(NEXT) | instid1(VALU_DEP_2)
	v_sub_co_u32 v7, vcc_lo, v5, v7
	v_add3_u32 v8, v8, v11, v10
	s_delay_alu instid0(VALU_DEP_1) | instskip(SKIP_1) | instid1(VALU_DEP_1)
	v_sub_nc_u32_e32 v10, v6, v8
	s_wait_alu 0xfffd
	v_subrev_co_ci_u32_e64 v10, s2, s21, v10, vcc_lo
	v_add_co_u32 v11, s2, v4, 2
	s_wait_alu 0xf1ff
	v_add_co_ci_u32_e64 v12, s2, 0, v9, s2
	v_sub_co_u32 v13, s2, v7, s20
	v_sub_co_ci_u32_e32 v8, vcc_lo, v6, v8, vcc_lo
	s_wait_alu 0xf1ff
	v_subrev_co_ci_u32_e64 v10, s2, 0, v10, s2
	s_delay_alu instid0(VALU_DEP_3) | instskip(NEXT) | instid1(VALU_DEP_3)
	v_cmp_le_u32_e32 vcc_lo, s20, v13
	v_cmp_eq_u32_e64 s2, s21, v8
	s_wait_alu 0xfffd
	v_cndmask_b32_e64 v13, 0, -1, vcc_lo
	v_cmp_le_u32_e32 vcc_lo, s21, v10
	s_wait_alu 0xfffd
	v_cndmask_b32_e64 v14, 0, -1, vcc_lo
	v_cmp_le_u32_e32 vcc_lo, s20, v7
	;; [unrolled: 3-line block ×3, first 2 shown]
	s_wait_alu 0xfffd
	v_cndmask_b32_e64 v15, 0, -1, vcc_lo
	v_cmp_eq_u32_e32 vcc_lo, s21, v10
	s_wait_alu 0xf1ff
	s_delay_alu instid0(VALU_DEP_2)
	v_cndmask_b32_e64 v7, v15, v7, s2
	s_wait_alu 0xfffd
	v_cndmask_b32_e32 v10, v14, v13, vcc_lo
	v_add_co_u32 v13, vcc_lo, v4, 1
	s_wait_alu 0xfffd
	v_add_co_ci_u32_e32 v14, vcc_lo, 0, v9, vcc_lo
	s_delay_alu instid0(VALU_DEP_3) | instskip(SKIP_2) | instid1(VALU_DEP_3)
	v_cmp_ne_u32_e32 vcc_lo, 0, v10
	s_wait_alu 0xfffd
	v_cndmask_b32_e32 v10, v13, v11, vcc_lo
	v_cndmask_b32_e32 v8, v14, v12, vcc_lo
	v_cmp_ne_u32_e32 vcc_lo, 0, v7
	s_wait_alu 0xfffd
	s_delay_alu instid0(VALU_DEP_2)
	v_dual_cndmask_b32 v7, v4, v10 :: v_dual_cndmask_b32 v8, v9, v8
.LBB0_4:                                ;   in Loop: Header=BB0_2 Depth=1
	s_wait_alu 0xfffe
	s_and_not1_saveexec_b32 s2, s22
	s_cbranch_execz .LBB0_6
; %bb.5:                                ;   in Loop: Header=BB0_2 Depth=1
	v_cvt_f32_u32_e32 v4, s20
	s_sub_co_i32 s22, 0, s20
	s_delay_alu instid0(VALU_DEP_1) | instskip(NEXT) | instid1(TRANS32_DEP_1)
	v_rcp_iflag_f32_e32 v4, v4
	v_mul_f32_e32 v4, 0x4f7ffffe, v4
	s_delay_alu instid0(VALU_DEP_1) | instskip(SKIP_1) | instid1(VALU_DEP_1)
	v_cvt_u32_f32_e32 v4, v4
	s_wait_alu 0xfffe
	v_mul_lo_u32 v7, s22, v4
	s_delay_alu instid0(VALU_DEP_1) | instskip(NEXT) | instid1(VALU_DEP_1)
	v_mul_hi_u32 v7, v4, v7
	v_add_nc_u32_e32 v4, v4, v7
	s_delay_alu instid0(VALU_DEP_1) | instskip(NEXT) | instid1(VALU_DEP_1)
	v_mul_hi_u32 v4, v5, v4
	v_mul_lo_u32 v7, v4, s20
	v_add_nc_u32_e32 v8, 1, v4
	s_delay_alu instid0(VALU_DEP_2) | instskip(NEXT) | instid1(VALU_DEP_1)
	v_sub_nc_u32_e32 v7, v5, v7
	v_subrev_nc_u32_e32 v9, s20, v7
	v_cmp_le_u32_e32 vcc_lo, s20, v7
	s_wait_alu 0xfffd
	s_delay_alu instid0(VALU_DEP_2) | instskip(NEXT) | instid1(VALU_DEP_1)
	v_dual_cndmask_b32 v7, v7, v9 :: v_dual_cndmask_b32 v4, v4, v8
	v_cmp_le_u32_e32 vcc_lo, s20, v7
	s_delay_alu instid0(VALU_DEP_2) | instskip(SKIP_1) | instid1(VALU_DEP_1)
	v_add_nc_u32_e32 v8, 1, v4
	s_wait_alu 0xfffd
	v_dual_cndmask_b32 v7, v4, v8 :: v_dual_mov_b32 v8, v3
.LBB0_6:                                ;   in Loop: Header=BB0_2 Depth=1
	s_wait_alu 0xfffe
	s_or_b32 exec_lo, exec_lo, s2
	s_load_b64 s[22:23], s[14:15], 0x0
	s_delay_alu instid0(VALU_DEP_1)
	v_mul_lo_u32 v4, v8, s20
	v_mul_lo_u32 v11, v7, s21
	v_mad_co_u64_u32 v[9:10], null, v7, s20, 0
	s_add_nc_u64 s[16:17], s[16:17], 1
	s_add_nc_u64 s[14:15], s[14:15], 8
	s_wait_alu 0xfffe
	v_cmp_ge_u64_e64 s2, s[16:17], s[6:7]
	s_add_nc_u64 s[18:19], s[18:19], 8
	s_delay_alu instid0(VALU_DEP_2) | instskip(NEXT) | instid1(VALU_DEP_3)
	v_add3_u32 v4, v10, v11, v4
	v_sub_co_u32 v5, vcc_lo, v5, v9
	s_wait_alu 0xfffd
	s_delay_alu instid0(VALU_DEP_2) | instskip(SKIP_3) | instid1(VALU_DEP_2)
	v_sub_co_ci_u32_e32 v4, vcc_lo, v6, v4, vcc_lo
	s_and_b32 vcc_lo, exec_lo, s2
	s_wait_kmcnt 0x0
	v_mul_lo_u32 v6, s23, v5
	v_mul_lo_u32 v4, s22, v4
	v_mad_co_u64_u32 v[1:2], null, s22, v5, v[1:2]
	s_delay_alu instid0(VALU_DEP_1)
	v_add3_u32 v2, v6, v2, v4
	s_wait_alu 0xfffe
	s_cbranch_vccnz .LBB0_9
; %bb.7:                                ;   in Loop: Header=BB0_2 Depth=1
	v_dual_mov_b32 v5, v7 :: v_dual_mov_b32 v6, v8
	s_branch .LBB0_2
.LBB0_8:
	v_dual_mov_b32 v8, v6 :: v_dual_mov_b32 v7, v5
.LBB0_9:
	s_lshl_b64 s[2:3], s[6:7], 3
	v_mul_hi_u32 v3, 0x4a7904b, v0
	s_wait_alu 0xfffe
	s_add_nc_u64 s[2:3], s[12:13], s[2:3]
	s_load_b64 s[0:1], s[0:1], 0x20
	s_load_b64 s[2:3], s[2:3], 0x0
                                        ; implicit-def: $vgpr53
                                        ; implicit-def: $vgpr12
                                        ; implicit-def: $vgpr13
	s_delay_alu instid0(VALU_DEP_1) | instskip(NEXT) | instid1(VALU_DEP_1)
	v_mul_u32_u24_e32 v3, 55, v3
	v_sub_nc_u32_e32 v50, v0, v3
	s_delay_alu instid0(VALU_DEP_1)
	v_add_nc_u32_e32 v45, 55, v50
	v_add_nc_u32_e32 v41, 0x6e, v50
	;; [unrolled: 1-line block ×4, first 2 shown]
	s_wait_kmcnt 0x0
	v_cmp_gt_u64_e32 vcc_lo, s[0:1], v[7:8]
	v_mul_lo_u32 v3, s2, v8
	v_mul_lo_u32 v4, s3, v7
	v_mad_co_u64_u32 v[0:1], null, s2, v7, v[1:2]
	v_cmp_le_u64_e64 s0, s[0:1], v[7:8]
                                        ; implicit-def: $sgpr2
                                        ; implicit-def: $vgpr8
	s_delay_alu instid0(VALU_DEP_2) | instskip(NEXT) | instid1(VALU_DEP_2)
	v_add3_u32 v1, v4, v1, v3
	s_and_saveexec_b32 s1, s0
	s_wait_alu 0xfffe
	s_xor_b32 s0, exec_lo, s1
; %bb.10:
	v_add_nc_u32_e32 v53, 55, v50
	v_add_nc_u32_e32 v12, 0x6e, v50
	;; [unrolled: 1-line block ×4, first 2 shown]
	s_mov_b32 s2, 0
; %bb.11:
	s_wait_alu 0xfffe
	s_or_saveexec_b32 s1, s0
	v_lshlrev_b64_e32 v[20:21], 2, v[0:1]
	v_add_nc_u32_e32 v0, 0x717, v50
	v_dual_mov_b32 v2, s2 :: v_dual_add_nc_u32 v31, 0x113, v50
	v_add_nc_u32_e32 v37, 0x226, v50
	v_dual_mov_b32 v1, s2 :: v_dual_add_nc_u32 v46, 0x339, v50
	v_dual_mov_b32 v67, s2 :: v_dual_add_nc_u32 v38, 0x672, v50
	;; [unrolled: 1-line block ×12, first 2 shown]
	v_add_nc_u32_e32 v40, 0x4f1, v50
	v_dual_mov_b32 v54, s2 :: v_dual_add_nc_u32 v49, 0x604, v50
	scratch_store_b32 off, v0, off          ; 4-byte Folded Spill
	v_add_nc_u32_e32 v42, 0x1ef, v50
	v_dual_mov_b32 v62, s2 :: v_dual_add_nc_u32 v51, 0x302, v50
	v_dual_mov_b32 v18, s2 :: v_dual_add_nc_u32 v29, 0x415, v50
	v_add_nc_u32_e32 v34, 0x528, v50
	v_dual_mov_b32 v22, s2 :: v_dual_add_nc_u32 v43, 0x63b, v50
	v_mov_b32_e32 v0, s2
	v_mov_b32_e32 v16, s2
	;; [unrolled: 1-line block ×3, first 2 shown]
                                        ; implicit-def: $vgpr78
                                        ; implicit-def: $vgpr76
                                        ; implicit-def: $vgpr5
                                        ; implicit-def: $vgpr74
                                        ; implicit-def: $vgpr68
                                        ; implicit-def: $vgpr72
                                        ; implicit-def: $vgpr70
                                        ; implicit-def: $vgpr9
                                        ; implicit-def: $vgpr81
                                        ; implicit-def: $vgpr3
                                        ; implicit-def: $vgpr6
                                        ; implicit-def: $vgpr7
                                        ; implicit-def: $vgpr14
                                        ; implicit-def: $vgpr17
                                        ; implicit-def: $vgpr23
                                        ; implicit-def: $vgpr24
                                        ; implicit-def: $vgpr60
                                        ; implicit-def: $vgpr66
                                        ; implicit-def: $vgpr85
                                        ; implicit-def: $vgpr86
	s_wait_alu 0xfffe
	s_xor_b32 exec_lo, exec_lo, s1
	s_cbranch_execz .LBB0_13
; %bb.12:
	v_mad_co_u64_u32 v[0:1], null, s8, v50, 0
	v_mad_co_u64_u32 v[2:3], null, s8, v31, 0
	;; [unrolled: 1-line block ×4, first 2 shown]
	v_add_nc_u32_e32 v17, 0x55f, v50
	v_add_nc_u32_e32 v14, 0x44c, v50
	v_mad_co_u64_u32 v[8:9], null, s9, v50, v[1:2]
	v_mad_co_u64_u32 v[9:10], null, s9, v31, v[3:4]
	v_mov_b32_e32 v3, v5
	v_mad_co_u64_u32 v[10:11], null, s8, v46, 0
	v_add_co_u32 v6, s0, s10, v20
	s_delay_alu instid0(VALU_DEP_3)
	v_mad_co_u64_u32 v[12:13], null, s9, v37, v[3:4]
	v_mov_b32_e32 v1, v8
	v_mov_b32_e32 v3, v9
	v_mad_co_u64_u32 v[8:9], null, s8, v14, 0
	s_wait_alu 0xf1ff
	v_add_co_ci_u32_e64 v7, s0, s11, v21, s0
	v_mov_b32_e32 v5, v12
	v_mad_co_u64_u32 v[11:12], null, s9, v46, v[11:12]
	v_mad_co_u64_u32 v[12:13], null, s8, v17, 0
	;; [unrolled: 1-line block ×4, first 2 shown]
	v_lshlrev_b64_e32 v[2:3], 2, v[2:3]
	v_lshlrev_b64_e32 v[4:5], 2, v[4:5]
	;; [unrolled: 1-line block ×3, first 2 shown]
	v_add_nc_u32_e32 v55, 0x25d, v50
	v_mov_b32_e32 v9, v14
	v_mad_co_u64_u32 v[13:14], null, s9, v17, v[13:14]
	v_mov_b32_e32 v14, v16
	v_lshlrev_b64_e32 v[0:1], 2, v[0:1]
	v_mad_co_u64_u32 v[17:18], null, s8, v45, 0
	v_lshlrev_b64_e32 v[8:9], 2, v[8:9]
	v_mad_co_u64_u32 v[53:54], null, s8, v55, 0
	s_delay_alu instid0(VALU_DEP_4)
	v_add_co_u32 v0, s0, v6, v0
	s_wait_alu 0xf1ff
	v_add_co_ci_u32_e64 v1, s0, v7, v1, s0
	v_add_co_u32 v2, s0, v6, v2
	s_wait_alu 0xf1ff
	v_add_co_ci_u32_e64 v3, s0, v7, v3, s0
	;; [unrolled: 3-line block ×4, first 2 shown]
	v_mad_co_u64_u32 v[10:11], null, s9, v38, v[14:15]
	v_lshlrev_b64_e32 v[12:13], 2, v[12:13]
	v_mov_b32_e32 v11, v18
	v_add_co_u32 v8, s0, v6, v8
	s_wait_alu 0xf1ff
	v_add_co_ci_u32_e64 v9, s0, v7, v9, s0
	v_mov_b32_e32 v16, v10
	v_mad_co_u64_u32 v[10:11], null, s9, v45, v[11:12]
	v_add_co_u32 v12, s0, v6, v12
	s_delay_alu instid0(VALU_DEP_3)
	v_lshlrev_b64_e32 v[14:15], 2, v[15:16]
	s_wait_alu 0xf1ff
	v_add_co_ci_u32_e64 v13, s0, v7, v13, s0
	v_mad_co_u64_u32 v[64:65], null, s8, v47, 0
	v_mov_b32_e32 v18, v10
	v_mov_b32_e32 v10, v25
	v_add_co_u32 v14, s0, v6, v14
	s_wait_alu 0xf1ff
	v_add_co_ci_u32_e64 v15, s0, v7, v15, s0
	v_lshlrev_b64_e32 v[16:17], 2, v[17:18]
	v_mad_co_u64_u32 v[10:11], null, s9, v26, v[10:11]
	v_mov_b32_e32 v11, v54
	v_mad_co_u64_u32 v[18:19], null, s8, v39, 0
	s_delay_alu instid0(VALU_DEP_4)
	v_add_co_u32 v16, s0, v6, v16
	s_wait_alu 0xf1ff
	v_add_co_ci_u32_e64 v17, s0, v7, v17, s0
	v_mov_b32_e32 v25, v10
	v_mad_co_u64_u32 v[54:55], null, s9, v55, v[11:12]
	s_clause 0x7
	global_load_b32 v0, v[0:1], off
	global_load_b32 v2, v[2:3], off
	global_load_b32 v11, v[4:5], off
	global_load_b32 v88, v[22:23], off
	global_load_b32 v10, v[8:9], off
	global_load_b32 v89, v[12:13], off
	global_load_b32 v3, v[14:15], off
	global_load_b32 v1, v[16:17], off
	v_mad_co_u64_u32 v[55:56], null, s8, v48, 0
	v_mad_co_u64_u32 v[8:9], null, s9, v39, v[19:20]
	;; [unrolled: 1-line block ×4, first 2 shown]
	s_delay_alu instid0(VALU_DEP_4)
	v_mov_b32_e32 v9, v56
	v_lshlrev_b64_e32 v[4:5], 2, v[24:25]
	v_mov_b32_e32 v19, v8
	v_lshlrev_b64_e32 v[14:15], 2, v[53:54]
	v_mad_co_u64_u32 v[53:54], null, s8, v41, 0
	v_mad_co_u64_u32 v[68:69], null, s8, v40, 0
	v_add_co_u32 v4, s0, v6, v4
	v_lshlrev_b64_e32 v[18:19], 2, v[18:19]
	s_wait_alu 0xf1ff
	v_add_co_ci_u32_e64 v5, s0, v7, v5, s0
	v_add_co_u32 v14, s0, v6, v14
	s_wait_alu 0xf1ff
	v_add_co_ci_u32_e64 v15, s0, v7, v15, s0
	v_add_co_u32 v18, s0, v6, v18
	s_wait_alu 0xf1ff
	v_add_co_ci_u32_e64 v19, s0, v7, v19, s0
	v_mad_co_u64_u32 v[78:79], null, s8, v34, 0
	s_wait_loadcnt 0x3
	v_mad_co_u64_u32 v[8:9], null, s9, v48, v[9:10]
	s_delay_alu instid0(VALU_DEP_1) | instskip(NEXT) | instid1(VALU_DEP_1)
	v_dual_mov_b32 v9, v13 :: v_dual_mov_b32 v56, v8
	v_mad_co_u64_u32 v[8:9], null, s9, v28, v[9:10]
	v_mov_b32_e32 v9, v17
	s_delay_alu instid0(VALU_DEP_3) | instskip(NEXT) | instid1(VALU_DEP_2)
	v_lshlrev_b64_e32 v[22:23], 2, v[55:56]
	v_mad_co_u64_u32 v[24:25], null, s9, v33, v[9:10]
	s_delay_alu instid0(VALU_DEP_4) | instskip(NEXT) | instid1(VALU_DEP_3)
	v_mov_b32_e32 v13, v8
	v_add_co_u32 v8, s0, v6, v22
	s_wait_alu 0xf1ff
	s_delay_alu instid0(VALU_DEP_4) | instskip(NEXT) | instid1(VALU_DEP_3)
	v_add_co_ci_u32_e64 v9, s0, v7, v23, s0
	v_lshlrev_b64_e32 v[12:13], 2, v[12:13]
	v_mov_b32_e32 v17, v24
	v_mad_co_u64_u32 v[23:24], null, s8, v52, 0
	v_mov_b32_e32 v22, v54
	s_delay_alu instid0(VALU_DEP_3)
	v_lshlrev_b64_e32 v[16:17], 2, v[16:17]
	v_add_co_u32 v12, s0, v6, v12
	s_wait_alu 0xf1ff
	v_add_co_ci_u32_e64 v13, s0, v7, v13, s0
	v_mad_co_u64_u32 v[54:55], null, s9, v41, v[22:23]
	v_mov_b32_e32 v22, v24
	v_add_co_u32 v24, s0, v6, v16
	s_wait_alu 0xf1ff
	v_add_co_ci_u32_e64 v25, s0, v7, v17, s0
	s_clause 0x5
	global_load_b32 v4, v[4:5], off
	global_load_b32 v16, v[14:15], off
	;; [unrolled: 1-line block ×6, first 2 shown]
	v_mad_co_u64_u32 v[55:56], null, s8, v30, 0
	v_mad_co_u64_u32 v[57:58], null, s9, v52, v[22:23]
	;; [unrolled: 1-line block ×3, first 2 shown]
	v_lshlrev_b64_e32 v[8:9], 2, v[53:54]
	v_add_nc_u32_e32 v25, 0x5cd, v50
	s_delay_alu instid0(VALU_DEP_4) | instskip(SKIP_1) | instid1(VALU_DEP_4)
	v_dual_mov_b32 v17, v56 :: v_dual_mov_b32 v24, v57
	v_add_nc_u32_e32 v57, 0x6e0, v50
	v_add_co_u32 v62, s0, v6, v8
	s_delay_alu instid0(VALU_DEP_3)
	v_mad_co_u64_u32 v[12:13], null, s9, v30, v[17:18]
	v_mov_b32_e32 v13, v59
	s_wait_alu 0xf1ff
	v_add_co_ci_u32_e64 v63, s0, v7, v9, s0
	v_lshlrev_b64_e32 v[8:9], 2, v[23:24]
	v_mad_co_u64_u32 v[17:18], null, s8, v25, 0
	v_mov_b32_e32 v56, v12
	v_mad_co_u64_u32 v[12:13], null, s9, v36, v[13:14]
	v_mad_co_u64_u32 v[13:14], null, s8, v44, 0
	v_add_co_u32 v23, s0, v6, v8
	v_mad_co_u64_u32 v[53:54], null, s8, v57, 0
	s_delay_alu instid0(VALU_DEP_4)
	v_mov_b32_e32 v59, v12
	s_wait_alu 0xf1ff
	v_add_co_ci_u32_e64 v24, s0, v7, v9, s0
	v_mov_b32_e32 v12, v14
	v_lshlrev_b64_e32 v[8:9], 2, v[55:56]
	v_mov_b32_e32 v22, v54
	s_delay_alu instid0(VALU_DEP_3)
	v_mad_co_u64_u32 v[55:56], null, s9, v44, v[12:13]
	v_mov_b32_e32 v12, v18
	v_lshlrev_b64_e32 v[18:19], 2, v[58:59]
	v_add_co_u32 v8, s0, v6, v8
	s_wait_alu 0xf1ff
	v_add_co_ci_u32_e64 v9, s0, v7, v9, s0
	v_mov_b32_e32 v14, v55
	v_mad_co_u64_u32 v[54:55], null, s9, v25, v[12:13]
	v_mad_co_u64_u32 v[55:56], null, s9, v57, v[22:23]
	v_mad_co_u64_u32 v[56:57], null, s8, v35, 0
	v_add_co_u32 v58, s0, v6, v18
	s_delay_alu instid0(VALU_DEP_4)
	v_mov_b32_e32 v18, v54
	v_lshlrev_b64_e32 v[12:13], 2, v[13:14]
	v_mov_b32_e32 v54, v55
	s_wait_alu 0xf1ff
	v_add_co_ci_u32_e64 v59, s0, v7, v19, s0
	v_lshlrev_b64_e32 v[17:18], 2, v[17:18]
	v_mov_b32_e32 v14, v57
	v_add_co_u32 v12, s0, v6, v12
	v_lshlrev_b64_e32 v[53:54], 2, v[53:54]
	s_wait_alu 0xf1ff
	v_add_co_ci_u32_e64 v13, s0, v7, v13, s0
	v_add_co_u32 v66, s0, v6, v17
	s_wait_alu 0xf1ff
	v_add_co_ci_u32_e64 v67, s0, v7, v18, s0
	v_add_co_u32 v53, s0, v6, v53
	s_wait_alu 0xf1ff
	v_add_co_ci_u32_e64 v54, s0, v7, v54, s0
	v_add_nc_u32_e32 v25, 0x3de, v50
	s_wait_loadcnt 0x2
	v_mad_co_u64_u32 v[60:61], null, s9, v35, v[14:15]
	v_mov_b32_e32 v14, v65
	s_delay_alu instid0(VALU_DEP_1)
	v_mad_co_u64_u32 v[17:18], null, s9, v47, v[14:15]
	s_clause 0x4
	global_load_b32 v22, v[8:9], off
	global_load_b32 v92, v[58:59], off
	global_load_b32 v18, v[12:13], off
	global_load_b32 v93, v[66:67], off
	global_load_b32 v9, v[53:54], off
	v_mov_b32_e32 v57, v60
	v_mad_co_u64_u32 v[60:61], null, s8, v25, 0
	v_mad_co_u64_u32 v[66:67], null, s8, v32, 0
	s_delay_alu instid0(VALU_DEP_3) | instskip(NEXT) | instid1(VALU_DEP_3)
	v_lshlrev_b64_e32 v[12:13], 2, v[56:57]
	v_mov_b32_e32 v8, v61
	s_wait_loadcnt 0x0
	s_delay_alu instid0(VALU_DEP_1) | instskip(SKIP_2) | instid1(VALU_DEP_3)
	v_mad_co_u64_u32 v[53:54], null, s9, v25, v[8:9]
	v_mad_co_u64_u32 v[54:55], null, s8, v49, 0
	v_dual_mov_b32 v8, v69 :: v_dual_add_nc_u32 v19, 0x2cb, v50
	v_mov_b32_e32 v61, v53
	s_delay_alu instid0(VALU_DEP_2) | instskip(NEXT) | instid1(VALU_DEP_1)
	v_mad_co_u64_u32 v[71:72], null, s8, v19, 0
	v_mov_b32_e32 v14, v72
	s_delay_alu instid0(VALU_DEP_1) | instskip(SKIP_3) | instid1(VALU_DEP_3)
	v_mad_co_u64_u32 v[56:57], null, s9, v19, v[14:15]
	v_add_nc_u32_e32 v14, 0x717, v50
	v_mad_co_u64_u32 v[57:58], null, s9, v40, v[8:9]
	v_mov_b32_e32 v8, v55
	v_mad_co_u64_u32 v[58:59], null, s8, v14, 0
	v_mov_b32_e32 v72, v56
	v_lshlrev_b64_e32 v[55:56], 2, v[60:61]
	s_delay_alu instid0(VALU_DEP_4) | instskip(NEXT) | instid1(VALU_DEP_4)
	v_mad_co_u64_u32 v[60:61], null, s9, v49, v[8:9]
	v_dual_mov_b32 v65, v17 :: v_dual_mov_b32 v8, v59
	s_delay_alu instid0(VALU_DEP_3) | instskip(SKIP_1) | instid1(VALU_DEP_4)
	v_add_co_u32 v73, s0, v6, v55
	s_wait_alu 0xf1ff
	v_add_co_ci_u32_e64 v74, s0, v7, v56, s0
	s_delay_alu instid0(VALU_DEP_4) | instskip(SKIP_4) | instid1(VALU_DEP_4)
	v_mov_b32_e32 v55, v60
	v_mad_co_u64_u32 v[59:60], null, s9, v14, v[8:9]
	v_mad_co_u64_u32 v[60:61], null, s8, v42, 0
	v_dual_mov_b32 v69, v57 :: v_dual_mov_b32 v8, v67
	v_lshlrev_b64_e32 v[64:65], 2, v[64:65]
	v_lshlrev_b64_e32 v[58:59], 2, v[58:59]
	s_delay_alu instid0(VALU_DEP_3) | instskip(NEXT) | instid1(VALU_DEP_4)
	v_lshlrev_b64_e32 v[56:57], 2, v[68:69]
	v_mad_co_u64_u32 v[67:68], null, s9, v32, v[8:9]
	v_mov_b32_e32 v8, v61
	v_mad_co_u64_u32 v[68:69], null, s8, v51, 0
	s_delay_alu instid0(VALU_DEP_4) | instskip(NEXT) | instid1(VALU_DEP_3)
	v_add_co_u32 v56, s0, v6, v56
	v_mad_co_u64_u32 v[75:76], null, s9, v42, v[8:9]
	v_mad_co_u64_u32 v[76:77], null, s8, v29, 0
	s_delay_alu instid0(VALU_DEP_4)
	v_mov_b32_e32 v8, v69
	v_lshlrev_b64_e32 v[53:54], 2, v[54:55]
	s_wait_alu 0xf1ff
	v_add_co_ci_u32_e64 v57, s0, v7, v57, s0
	v_mov_b32_e32 v61, v75
	v_mad_co_u64_u32 v[69:70], null, s9, v51, v[8:9]
	v_mov_b32_e32 v8, v77
	v_add_co_u32 v53, s0, v6, v53
	v_lshlrev_b64_e32 v[66:67], 2, v[66:67]
	s_wait_alu 0xf1ff
	v_add_co_ci_u32_e64 v54, s0, v7, v54, s0
	v_mad_co_u64_u32 v[80:81], null, s9, v29, v[8:9]
	v_mov_b32_e32 v8, v79
	v_mad_co_u64_u32 v[81:82], null, s8, v43, 0
	v_add_co_u32 v58, s0, v6, v58
	v_lshlrev_b64_e32 v[60:61], 2, v[60:61]
	v_mov_b32_e32 v77, v80
	v_mad_co_u64_u32 v[83:84], null, s9, v34, v[8:9]
	v_add_nc_u32_e32 v14, 0x74e, v50
	s_wait_alu 0xf1ff
	v_add_co_ci_u32_e64 v59, s0, v7, v59, s0
	v_add_co_u32 v66, s0, v6, v66
	s_wait_alu 0xf1ff
	v_add_co_ci_u32_e64 v67, s0, v7, v67, s0
	v_mov_b32_e32 v79, v83
	v_mad_co_u64_u32 v[84:85], null, s8, v14, 0
	v_add_co_u32 v86, s0, v6, v60
	v_mov_b32_e32 v8, v82
	s_wait_alu 0xf1ff
	v_add_co_ci_u32_e64 v87, s0, v7, v61, s0
	v_lshlrev_b64_e32 v[60:61], 2, v[68:69]
	s_delay_alu instid0(VALU_DEP_3) | instskip(SKIP_1) | instid1(VALU_DEP_3)
	v_mad_co_u64_u32 v[68:69], null, s9, v43, v[8:9]
	v_mov_b32_e32 v8, v85
	v_add_co_u32 v69, s0, v6, v60
	s_wait_alu 0xf1ff
	s_delay_alu instid0(VALU_DEP_4) | instskip(SKIP_4) | instid1(VALU_DEP_4)
	v_add_co_ci_u32_e64 v70, s0, v7, v61, s0
	v_lshlrev_b64_e32 v[60:61], 2, v[76:77]
	v_mad_co_u64_u32 v[75:76], null, s9, v14, v[8:9]
	v_mov_b32_e32 v82, v68
	v_lshlrev_b64_e32 v[76:77], 2, v[78:79]
	v_add_co_u32 v78, s0, v6, v60
	s_wait_alu 0xf1ff
	v_add_co_ci_u32_e64 v79, s0, v7, v61, s0
	v_mov_b32_e32 v85, v75
	v_lshlrev_b64_e32 v[60:61], 2, v[81:82]
	v_add_co_u32 v75, s0, v6, v76
	s_wait_alu 0xf1ff
	v_add_co_ci_u32_e64 v76, s0, v7, v77, s0
	v_lshlrev_b64_e32 v[80:81], 2, v[84:85]
	s_delay_alu instid0(VALU_DEP_4) | instskip(SKIP_3) | instid1(VALU_DEP_4)
	v_add_co_u32 v82, s0, v6, v60
	s_wait_alu 0xf1ff
	v_add_co_ci_u32_e64 v83, s0, v7, v61, s0
	v_perm_b32 v60, v91, v90, 0x5040100
	v_add_co_u32 v80, s0, v6, v80
	s_wait_alu 0xf1ff
	v_add_co_ci_u32_e64 v81, s0, v7, v81, s0
	s_clause 0xa
	global_load_b32 v8, v[73:74], off
	global_load_b32 v61, v[56:57], off
	;; [unrolled: 1-line block ×11, first 2 shown]
	v_add_co_u32 v12, s0, v6, v12
	v_lshlrev_b64_e32 v[57:58], 2, v[71:72]
	s_wait_alu 0xf1ff
	v_add_co_ci_u32_e64 v13, s0, v7, v13, s0
	v_add_co_u32 v64, s0, v6, v64
	s_wait_alu 0xf1ff
	v_add_co_ci_u32_e64 v65, s0, v7, v65, s0
	v_add_co_u32 v6, s0, v6, v57
	s_wait_alu 0xf1ff
	v_add_co_ci_u32_e64 v7, s0, v7, v58, s0
	s_clause 0x4
	global_load_b32 v59, v[62:63], off
	global_load_b32 v67, v[23:24], off
	;; [unrolled: 1-line block ×5, first 2 shown]
	v_lshrrev_b32_e32 v78, 16, v89
	v_lshrrev_b32_e32 v76, 16, v91
	v_lshrrev_b32_e32 v81, 16, v93
	v_perm_b32 v23, v93, v92, 0x5040100
	v_perm_b32 v24, v9, v92, 0x7060302
	;; [unrolled: 1-line block ×5, first 2 shown]
	v_dual_mov_b32 v13, v35 :: v_dual_mov_b32 v12, v41
	s_wait_loadcnt 0xd
	v_lshrrev_b32_e32 v74, 16, v14
	v_perm_b32 v14, v14, v8, 0x5040100
	s_wait_loadcnt 0x6
	v_lshrrev_b32_e32 v72, 16, v53
	v_perm_b32 v6, v53, v17, 0x5040100
	v_mov_b32_e32 v53, v45
	s_wait_loadcnt 0x5
	v_perm_b32 v7, v70, v17, 0x7060302
	v_perm_b32 v17, v68, v8, 0x7060302
	v_mov_b32_e32 v8, v32
.LBB0_13:
	s_or_b32 exec_lo, exec_lo, s1
	v_lshrrev_b32_e32 v93, 16, v11
	v_perm_b32 v90, v11, v10, 0x5040100
	v_perm_b32 v98, v2, v10, 0x7060302
	v_add_f16_e32 v55, v3, v2
	v_lshrrev_b32_e32 v96, 16, v16
	v_sub_f16_e32 v11, v93, v78
	v_pk_add_f16 v69, v85, v90
	v_pk_add_f16 v77, v98, v86 neg_lo:[0,1] neg_hi:[0,1]
	v_perm_b32 v106, v16, v15, 0x5040100
	v_add_f16_e32 v57, v5, v4
	v_perm_b32 v108, v4, v15, 0x7060302
	v_lshrrev_b32_e32 v75, 16, v69
	v_alignbit_b32 v79, v55, v69, 16
	v_pack_b32_f16 v82, v11, v77
	v_add_f16_e32 v83, v11, v77
	v_lshrrev_b32_e32 v84, 16, v77
	v_add_f16_e32 v75, v55, v75
	v_sub_f16_e32 v55, v55, v69
	v_pk_add_f16 v79, v69, v79 neg_lo:[0,1] neg_hi:[0,1]
	v_pk_add_f16 v77, v77, v82 neg_lo:[0,1] neg_hi:[0,1]
	v_sub_f16_e32 v11, v11, v84
	v_add_f16_e32 v69, v75, v69
	v_mul_f16_e32 v75, 0xba52, v55
	v_pk_mul_f16 v82, 0x39e02b26, v79
	v_add_f16_e32 v83, v84, v83
	v_pk_mul_f16 v84, 0xb5743846, v77
	v_add_f16_e32 v87, v69, v0
	v_mul_f16_e32 v11, 0xbb00, v11
	v_alignbit_b32 v75, v75, v82, 16
	v_mul_f16_e32 v88, 0xb70e, v83
	v_lshrrev_b32_e32 v89, 16, v84
	v_fmamk_f16 v69, v69, 0xbcab, v87
	v_pk_fma_f16 v11, 0xb5743846, v77, v11 op_sel_hi:[1,1,0] neg_lo:[0,1,0] neg_hi:[0,1,1]
	v_pk_fma_f16 v75, 0x39e02b26, v79, v75 neg_lo:[0,1,0] neg_hi:[0,1,0]
	v_fmamk_f16 v79, v55, 0x3a52, v82
	v_add_f16_e32 v82, v89, v84
	v_sub_f16_e32 v63, v96, v76
	v_pk_add_f16 v11, v11, v88 op_sel_hi:[1,0]
	v_pk_add_f16 v75, v75, v69 op_sel_hi:[1,0]
	v_add_f16_e32 v16, v79, v69
	v_fmac_f16_e32 v82, 0xb70e, v83
	v_pk_add_f16 v79, v60, v106
	v_pk_add_f16 v88, v108, v66 neg_lo:[0,1] neg_hi:[0,1]
	v_pk_add_f16 v69, v75, v11
	v_pk_add_f16 v11, v75, v11 neg_lo:[0,1] neg_hi:[0,1]
	v_add_f16_e32 v15, v16, v82
	v_sub_f16_e32 v16, v16, v82
	v_lshrrev_b32_e32 v75, 16, v79
	v_mad_u32_u24 v55, v50, 14, 0
	v_bfi_b32 v84, 0xffff, v69, v11
	v_pack_b32_f16 v82, v87, v15
	v_alignbit_b32 v15, v57, v79, 16
	v_alignbit_b32 v83, v11, v69, 16
	v_add_f16_e32 v11, v57, v75
	v_pack_b32_f16 v69, v63, v88
	v_lshrrev_b32_e32 v87, 16, v88
	v_sub_f16_e32 v57, v57, v79
	v_pk_add_f16 v15, v79, v15 neg_lo:[0,1] neg_hi:[0,1]
	v_add_f16_e32 v75, v63, v88
	v_pk_add_f16 v69, v88, v69 neg_lo:[0,1] neg_hi:[0,1]
	v_add_f16_e32 v11, v11, v79
	v_mul_f16_e32 v79, 0xba52, v57
	v_pk_mul_f16 v88, 0x39e02b26, v15
	v_sub_f16_e32 v63, v63, v87
	v_add_f16_e32 v75, v87, v75
	v_add_f16_e32 v87, v11, v1
	v_pk_mul_f16 v91, 0xb5743846, v69
	v_alignbit_b32 v79, v79, v88, 16
	v_mul_f16_e32 v63, 0xbb00, v63
	v_mul_f16_e32 v89, 0xb70e, v75
	v_fmamk_f16 v11, v11, 0xbcab, v87
	v_fmamk_f16 v57, v57, 0x3a52, v88
	v_lshrrev_b32_e32 v88, 16, v91
	v_pk_fma_f16 v15, 0x39e02b26, v15, v79 neg_lo:[0,1,0] neg_hi:[0,1,0]
	v_pk_fma_f16 v63, 0xb5743846, v69, v63 op_sel_hi:[1,1,0] neg_lo:[0,1,0] neg_hi:[0,1,1]
	ds_store_b96 v55, v[82:84]
	ds_store_b16 v55, v16 offset:12
	v_perm_b32 v111, v22, v18, 0x5040100
	v_add_f16_e32 v16, v88, v91
	v_pk_add_f16 v15, v15, v11 op_sel_hi:[1,0]
	v_pk_add_f16 v63, v63, v89 op_sel_hi:[1,0]
	v_lshrrev_b32_e32 v102, 16, v22
	s_wait_loadcnt 0x3
	v_add_f16_e32 v64, v9, v67
	v_add_f16_e32 v11, v57, v11
	v_fmac_f16_e32 v16, 0xb70e, v75
	v_pk_add_f16 v22, v15, v63
	v_pk_add_f16 v15, v15, v63 neg_lo:[0,1] neg_hi:[0,1]
	v_pk_add_f16 v63, v23, v111
	v_perm_b32 v112, v67, v18, 0x7060302
	v_sub_f16_e32 v10, v102, v81
	v_add_f16_e32 v69, v11, v16
	v_sub_f16_e32 v11, v11, v16
	v_bfi_b32 v84, 0xffff, v22, v15
	v_lshrrev_b32_e32 v16, 16, v63
	v_alignbit_b32 v83, v15, v22, 16
	v_alignbit_b32 v15, v64, v63, 16
	v_pk_add_f16 v18, v112, v24 neg_lo:[0,1] neg_hi:[0,1]
	v_pack_b32_f16 v82, v87, v69
	v_add_f16_e32 v16, v64, v16
	v_sub_f16_e32 v22, v64, v63
	v_pk_add_f16 v15, v63, v15 neg_lo:[0,1] neg_hi:[0,1]
	v_pack_b32_f16 v69, v10, v18
	v_add_f16_e32 v64, v10, v18
	v_lshrrev_b32_e32 v75, 16, v18
	v_add_f16_e32 v16, v16, v63
	v_mul_f16_e32 v63, 0xba52, v22
	v_pk_mul_f16 v79, 0x39e02b26, v15
	v_pk_add_f16 v18, v18, v69 neg_lo:[0,1] neg_hi:[0,1]
	v_sub_f16_e32 v10, v10, v75
	v_add_f16_e32 v64, v75, v64
	v_mad_i32_i24 v57, v53, 14, 0
	v_alignbit_b32 v63, v63, v79, 16
	v_pk_mul_f16 v75, 0xb5743846, v18
	v_add_f16_e32 v69, v16, v59
	v_mul_f16_e32 v10, 0xbb00, v10
	v_mul_f16_e32 v87, 0xb70e, v64
	v_pk_fma_f16 v15, 0x39e02b26, v15, v63 neg_lo:[0,1,0] neg_hi:[0,1,0]
	v_lshrrev_b32_e32 v63, 16, v75
	v_fmamk_f16 v16, v16, 0xbcab, v69
	v_pk_fma_f16 v10, 0xb5743846, v18, v10 op_sel_hi:[1,1,0] neg_lo:[0,1,0] neg_hi:[0,1,1]
	ds_store_b96 v57, v[82:84]
	ds_store_b16 v57, v11 offset:12
	v_fmamk_f16 v11, v22, 0x3a52, v79
	v_add_f16_e32 v18, v63, v75
	v_pk_add_f16 v15, v15, v16 op_sel_hi:[1,0]
	v_pk_add_f16 v10, v10, v87 op_sel_hi:[1,0]
	s_wait_loadcnt 0x0
	v_perm_b32 v113, v62, v61, 0x5040100
	v_add_f16_e32 v11, v11, v16
	v_fmac_f16_e32 v18, 0xb70e, v64
	v_lshrrev_b32_e32 v97, 16, v62
	v_add_f16_e32 v71, v68, v65
	v_pk_add_f16 v16, v15, v10
	v_pk_add_f16 v22, v14, v113
	v_pk_add_f16 v10, v15, v10 neg_lo:[0,1] neg_hi:[0,1]
	v_perm_b32 v114, v65, v61, 0x7060302
	v_add_f16_e32 v15, v11, v18
	v_sub_f16_e32 v73, v97, v74
	v_sub_f16_e32 v11, v11, v18
	v_lshrrev_b32_e32 v18, 16, v22
	v_pk_add_f16 v64, v114, v17 neg_lo:[0,1] neg_hi:[0,1]
	v_pack_b32_f16 v61, v69, v15
	v_alignbit_b32 v15, v71, v22, 16
	v_bfi_b32 v63, 0xffff, v16, v10
	v_alignbit_b32 v62, v10, v16, 16
	v_add_f16_e32 v10, v71, v18
	v_pack_b32_f16 v16, v73, v64
	v_sub_f16_e32 v71, v71, v22
	v_pk_add_f16 v15, v22, v15 neg_lo:[0,1] neg_hi:[0,1]
	v_add_f16_e32 v18, v73, v64
	v_lshrrev_b32_e32 v69, 16, v64
	v_pk_add_f16 v16, v64, v16 neg_lo:[0,1] neg_hi:[0,1]
	v_add_f16_e32 v10, v10, v22
	v_mul_f16_e32 v22, 0xba52, v71
	v_pk_mul_f16 v64, 0x39e02b26, v15
	v_add_f16_e32 v18, v69, v18
	v_sub_f16_e32 v69, v73, v69
	v_add_f16_e32 v73, v10, v58
	v_perm_b32 v115, v54, v25, 0x5040100
	v_alignbit_b32 v22, v22, v64, 16
	v_fmamk_f16 v64, v71, 0x3a52, v64
	v_mul_f16_e32 v69, 0xbb00, v69
	v_fmamk_f16 v10, v10, 0xbcab, v73
	v_lshrrev_b32_e32 v100, 16, v54
	v_pk_fma_f16 v15, 0x39e02b26, v15, v22 neg_lo:[0,1,0] neg_hi:[0,1,0]
	v_pk_mul_f16 v75, 0xb5743846, v16
	v_mul_f16_e32 v82, 0xb70e, v18
	v_pk_fma_f16 v16, 0xb5743846, v16, v69 op_sel_hi:[1,1,0] neg_lo:[0,1,0] neg_hi:[0,1,1]
	v_add_f16_e32 v54, v64, v10
	v_pk_add_f16 v10, v15, v10 op_sel_hi:[1,0]
	v_pk_add_f16 v15, v6, v115
	v_perm_b32 v116, v56, v25, 0x7060302
	v_add_f16_e32 v80, v70, v56
	v_sub_f16_e32 v77, v100, v72
	v_pk_add_f16 v16, v16, v82 op_sel_hi:[1,0]
	v_lshrrev_b32_e32 v25, 16, v15
	v_pk_add_f16 v64, v116, v7 neg_lo:[0,1] neg_hi:[0,1]
	v_lshrrev_b32_e32 v83, 16, v75
	v_alignbit_b32 v71, v80, v15, 16
	v_pk_add_f16 v69, v10, v16
	v_pk_add_f16 v10, v10, v16 neg_lo:[0,1] neg_hi:[0,1]
	v_add_f16_e32 v16, v80, v25
	v_pack_b32_f16 v25, v77, v64
	v_add_f16_e32 v22, v83, v75
	v_sub_f16_e32 v75, v80, v15
	v_pk_add_f16 v71, v15, v71 neg_lo:[0,1] neg_hi:[0,1]
	v_add_f16_e32 v80, v77, v64
	v_lshrrev_b32_e32 v82, 16, v64
	v_pk_add_f16 v25, v64, v25 neg_lo:[0,1] neg_hi:[0,1]
	v_add_f16_e32 v15, v16, v15
	v_pk_mul_f16 v16, 0x39e02b26, v71
	v_mul_f16_e32 v64, 0xba52, v75
	v_sub_f16_e32 v77, v77, v82
	v_add_f16_e32 v80, v82, v80
	v_pk_mul_f16 v82, 0xb5743846, v25
	v_fmac_f16_e32 v22, 0xb70e, v18
	v_add_f16_e32 v87, v15, v19
	v_alignbit_b32 v64, v64, v16, 16
	v_mul_f16_e32 v77, 0xbb00, v77
	v_lshrrev_b32_e32 v84, 16, v82
	v_add_f16_e32 v18, v54, v22
	v_mul_f16_e32 v83, 0xb70e, v80
	v_fmamk_f16 v15, v15, 0xbcab, v87
	v_pk_fma_f16 v64, 0x39e02b26, v71, v64 neg_lo:[0,1,0] neg_hi:[0,1,0]
	v_pk_fma_f16 v25, 0xb5743846, v25, v77 op_sel_hi:[1,1,0] neg_lo:[0,1,0] neg_hi:[0,1,1]
	v_sub_f16_e32 v22, v54, v22
	v_fmamk_f16 v16, v75, 0x3a52, v16
	v_add_f16_e32 v54, v84, v82
	v_pk_add_f16 v64, v64, v15 op_sel_hi:[1,0]
	v_pk_add_f16 v25, v25, v83 op_sel_hi:[1,0]
	v_pack_b32_f16 v82, v73, v18
	v_add_f16_e32 v15, v16, v15
	v_fmac_f16_e32 v54, 0xb70e, v80
	v_mad_i32_i24 v79, v12, 14, 0
	v_pk_add_f16 v16, v64, v25
	v_pk_add_f16 v118, v64, v25 neg_lo:[0,1] neg_hi:[0,1]
	v_bfi_b32 v84, 0xffff, v69, v10
	v_add_f16_e32 v18, v15, v54
	v_alignbit_b32 v83, v10, v69, 16
	v_sub_f16_e32 v10, v15, v54
	v_mad_i32_i24 v54, v50, -12, v55
	v_mad_i32_i24 v89, v13, 14, 0
	v_mad_i32_i24 v25, v8, 14, 0
	v_bfi_b32 v105, 0xffff, v16, v118
	v_alignbit_b32 v104, v118, v16, 16
	v_pack_b32_f16 v103, v87, v18
	ds_store_b96 v79, v[61:63]
	ds_store_b16 v79, v11 offset:12
	ds_store_b96 v89, v[82:84]
	ds_store_b16 v89, v22 offset:12
	;; [unrolled: 2-line block ×3, first 2 shown]
	v_mad_i32_i24 v11, v12, -12, v79
	global_wb scope:SCOPE_SE
	s_wait_storecnt_dscnt 0x0
	s_barrier_signal -1
	s_barrier_wait -1
	global_inv scope:SCOPE_SE
	v_mad_i32_i24 v15, v53, -12, v57
	ds_load_u16 v107, v54
	ds_load_u16 v91, v54 offset:350
	ds_load_u16 v71, v54 offset:460
	;; [unrolled: 1-line block ×5, first 2 shown]
	ds_load_u16 v82, v11
	ds_load_u16 v94, v54 offset:1050
	ds_load_u16 v22, v54 offset:920
	;; [unrolled: 1-line block ×18, first 2 shown]
	ds_load_u16 v103, v15
	ds_load_u16 v25, v54 offset:3720
	ds_load_u16 v75, v54 offset:3610
	ds_load_u16 v84, v54 offset:3500
	ds_load_u16 v64, v54 offset:3370
	ds_load_u16 v105, v54 offset:3260
	ds_load_u16 v110, v54 offset:3150
	ds_load_u16 v80, v54 offset:3020
	v_mul_i32_i24_e32 v120, 14, v8
	v_mul_i32_i24_e32 v119, -12, v53
	v_cmp_gt_u32_e64 s0, 10, v50
	v_lshrrev_b32_e32 v15, 16, v118
	v_mul_i32_i24_e32 v118, -12, v12
                                        ; implicit-def: $vgpr137
                                        ; implicit-def: $vgpr138
                                        ; implicit-def: $vgpr139
                                        ; implicit-def: $vgpr140
                                        ; implicit-def: $vgpr135
                                        ; implicit-def: $vgpr136
                                        ; implicit-def: $vgpr141
                                        ; implicit-def: $vgpr142
                                        ; implicit-def: $vgpr143
	s_delay_alu instid0(VALU_DEP_3)
	s_and_saveexec_b32 s1, s0
	s_cbranch_execz .LBB0_15
; %bb.14:
	v_mad_i32_i24 v15, v13, -12, v89
	ds_load_u16 v10, v54 offset:680
	ds_load_u16 v137, v54 offset:1030
	;; [unrolled: 1-line block ×9, first 2 shown]
	ds_load_u16 v15, v15
	ds_load_u16 v135, v54 offset:3830
.LBB0_15:
	s_wait_alu 0xfffe
	s_or_b32 exec_lo, exec_lo, s1
	v_sub_f16_e32 v4, v4, v5
	v_add_f16_e32 v5, v76, v96
	v_pk_add_f16 v76, v86, v98
	v_sub_f16_e32 v2, v2, v3
	v_add_f16_e32 v3, v78, v93
	v_sub_f16_e32 v65, v65, v68
	v_add_f16_e32 v68, v74, v97
	v_pk_add_f16 v74, v90, v85 neg_lo:[0,1] neg_hi:[0,1]
	v_lshrrev_b32_e32 v78, 16, v76
	v_sub_f16_e32 v9, v67, v9
	v_add_f16_e32 v67, v81, v102
	v_sub_f16_e32 v56, v56, v70
	v_add_f16_e32 v70, v72, v100
	v_lshrrev_b32_e32 v72, 16, v74
	v_add_f16_e32 v81, v78, v3
	v_lshrrev_b32_e32 v0, 16, v0
	v_sub_f16_e32 v85, v3, v78
	v_sub_f16_e32 v78, v78, v76
	;; [unrolled: 1-line block ×3, first 2 shown]
	v_add_f16_e32 v86, v72, v74
	v_add_f16_e32 v76, v81, v76
	v_sub_f16_e32 v81, v74, v72
	v_sub_f16_e32 v72, v72, v2
	;; [unrolled: 1-line block ×3, first 2 shown]
	v_add_f16_e32 v2, v2, v86
	v_add_f16_e32 v86, v76, v0
	v_mul_f16_e32 v0, 0x2b26, v3
	v_mul_f16_e32 v3, 0x3a52, v78
	;; [unrolled: 1-line block ×4, first 2 shown]
	v_fmamk_f16 v76, v76, 0xbcab, v86
	v_fmamk_f16 v78, v78, 0x3a52, v0
	v_fma_f16 v0, v85, 0x39e0, -v0
	v_fma_f16 v3, v85, 0xb9e0, -v3
	v_fmamk_f16 v85, v74, 0xb574, v81
	v_fma_f16 v72, v72, 0xbb00, -v81
	v_fma_f16 v74, v74, 0x3574, -v90
	v_add_f16_e32 v78, v78, v76
	v_add_f16_e32 v0, v0, v76
	v_fmac_f16_e32 v85, 0xb70e, v2
	v_fmac_f16_e32 v72, 0xb70e, v2
	;; [unrolled: 1-line block ×3, first 2 shown]
	v_lshrrev_b32_e32 v2, 16, v19
	v_pk_add_f16 v19, v66, v108
	v_add_f16_e32 v3, v3, v76
	v_pk_add_f16 v60, v106, v60 neg_lo:[0,1] neg_hi:[0,1]
	v_sub_f16_e32 v66, v78, v85
	v_add_f16_e32 v81, v72, v0
	v_lshrrev_b32_e32 v90, 16, v19
	v_sub_f16_e32 v76, v3, v74
	v_sub_f16_e32 v72, v0, v72
	v_add_f16_e32 v3, v74, v3
	v_add_f16_e32 v74, v85, v78
	v_lshrrev_b32_e32 v0, 16, v60
	v_add_f16_e32 v78, v90, v5
	v_lshrrev_b32_e32 v1, 16, v1
	v_sub_f16_e32 v85, v5, v90
	v_sub_f16_e32 v90, v90, v19
	;; [unrolled: 1-line block ×3, first 2 shown]
	v_add_f16_e32 v93, v0, v60
	v_add_f16_e32 v19, v78, v19
	v_sub_f16_e32 v78, v60, v0
	v_sub_f16_e32 v60, v4, v60
	;; [unrolled: 1-line block ×3, first 2 shown]
	v_add_f16_e32 v4, v4, v93
	v_add_f16_e32 v93, v19, v1
	v_mul_f16_e32 v1, 0x2b26, v5
	v_mul_f16_e32 v5, 0x3a52, v90
	;; [unrolled: 1-line block ×4, first 2 shown]
	v_fmamk_f16 v19, v19, 0xbcab, v93
	v_fmamk_f16 v90, v90, 0x3a52, v1
	v_fma_f16 v1, v85, 0x39e0, -v1
	v_fma_f16 v5, v85, 0xb9e0, -v5
	v_fmamk_f16 v85, v60, 0xb574, v78
	v_fma_f16 v0, v0, 0xbb00, -v78
	v_add_f16_e32 v78, v90, v19
	v_add_f16_e32 v1, v1, v19
	;; [unrolled: 1-line block ×3, first 2 shown]
	v_pk_add_f16 v19, v24, v112
	v_fma_f16 v60, v60, 0x3574, -v96
	v_fmac_f16_e32 v0, 0xb70e, v4
	v_pk_add_f16 v23, v111, v23 neg_lo:[0,1] neg_hi:[0,1]
	v_lshrrev_b32_e32 v59, 16, v59
	v_lshrrev_b32_e32 v90, 16, v19
	v_fmac_f16_e32 v60, 0xb70e, v4
	v_add_f16_e32 v96, v0, v1
	v_sub_f16_e32 v97, v1, v0
	v_lshrrev_b32_e32 v0, 16, v23
	v_add_f16_e32 v1, v90, v67
	v_sub_f16_e32 v24, v5, v60
	v_add_f16_e32 v5, v60, v5
	v_sub_f16_e32 v60, v67, v90
	v_sub_f16_e32 v90, v90, v19
	;; [unrolled: 1-line block ×3, first 2 shown]
	v_add_f16_e32 v98, v0, v23
	v_add_f16_e32 v1, v1, v19
	v_sub_f16_e32 v19, v23, v0
	v_sub_f16_e32 v0, v0, v9
	;; [unrolled: 1-line block ×3, first 2 shown]
	v_add_f16_e32 v9, v9, v98
	v_add_f16_e32 v59, v1, v59
	v_mul_f16_e32 v67, 0x2b26, v67
	v_mul_f16_e32 v98, 0x3a52, v90
	;; [unrolled: 1-line block ×4, first 2 shown]
	v_fmamk_f16 v1, v1, 0xbcab, v59
	v_fmamk_f16 v90, v90, 0x3a52, v67
	v_fma_f16 v67, v60, 0x39e0, -v67
	v_fma_f16 v60, v60, 0xb9e0, -v98
	v_fmamk_f16 v98, v23, 0xb574, v19
	v_fma_f16 v0, v0, 0xbb00, -v19
	v_fma_f16 v19, v23, 0x3574, -v100
	v_pk_add_f16 v17, v17, v114
	v_fmac_f16_e32 v85, 0xb70e, v4
	v_add_f16_e32 v23, v90, v1
	v_add_f16_e32 v67, v67, v1
	;; [unrolled: 1-line block ×3, first 2 shown]
	v_fmac_f16_e32 v19, 0xb70e, v9
	v_fmac_f16_e32 v0, 0xb70e, v9
	v_pk_add_f16 v14, v113, v14 neg_lo:[0,1] neg_hi:[0,1]
	v_lshrrev_b32_e32 v90, 16, v17
	v_sub_f16_e32 v4, v78, v85
	v_fmac_f16_e32 v98, 0xb70e, v9
	v_add_f16_e32 v9, v85, v78
	v_sub_f16_e32 v78, v1, v19
	v_add_f16_e32 v85, v0, v67
	v_sub_f16_e32 v67, v67, v0
	v_add_f16_e32 v19, v19, v1
	v_lshrrev_b32_e32 v0, 16, v14
	v_add_f16_e32 v1, v90, v68
	v_lshrrev_b32_e32 v58, 16, v58
	v_sub_f16_e32 v60, v23, v98
	v_add_f16_e32 v23, v98, v23
	v_sub_f16_e32 v98, v68, v90
	v_sub_f16_e32 v90, v90, v17
	;; [unrolled: 1-line block ×3, first 2 shown]
	v_add_f16_e32 v1, v1, v17
	v_sub_f16_e32 v17, v14, v0
	v_add_f16_e32 v100, v0, v14
	v_sub_f16_e32 v0, v0, v65
	v_mul_f16_e32 v68, 0x2b26, v68
	v_add_f16_e32 v58, v1, v58
	v_mul_f16_e32 v17, 0x3846, v17
	v_sub_f16_e32 v14, v65, v14
	v_add_f16_e32 v65, v65, v100
	v_mul_f16_e32 v100, 0x3a52, v90
	v_mul_f16_e32 v102, 0xbb00, v0
	v_fmamk_f16 v1, v1, 0xbcab, v58
	v_fmamk_f16 v90, v90, 0x3a52, v68
	v_fma_f16 v68, v98, 0x39e0, -v68
	v_fma_f16 v0, v0, 0xbb00, -v17
	v_pk_add_f16 v7, v7, v116
	v_fma_f16 v98, v98, 0xb9e0, -v100
	v_fmamk_f16 v100, v14, 0xb574, v17
	v_add_f16_e32 v17, v90, v1
	v_add_f16_e32 v68, v68, v1
	v_fmac_f16_e32 v0, 0xb70e, v65
	v_pk_add_f16 v6, v115, v6 neg_lo:[0,1] neg_hi:[0,1]
	v_lshrrev_b32_e32 v90, 16, v7
	v_fma_f16 v14, v14, 0x3574, -v102
	v_fmac_f16_e32 v100, 0xb70e, v65
	v_add_f16_e32 v102, v0, v68
	v_sub_f16_e32 v68, v68, v0
	v_lshrrev_b32_e32 v0, 16, v6
	v_add_f16_e32 v106, v90, v70
	v_sub_f16_e32 v108, v70, v90
	v_sub_f16_e32 v90, v90, v7
	;; [unrolled: 1-line block ×3, first 2 shown]
	v_add_f16_e32 v111, v0, v6
	v_add_f16_e32 v7, v106, v7
	v_sub_f16_e32 v106, v6, v0
	v_sub_f16_e32 v0, v0, v56
	;; [unrolled: 1-line block ×3, first 2 shown]
	v_add_f16_e32 v56, v56, v111
	v_add_f16_e32 v111, v7, v2
	v_mul_f16_e32 v2, 0x2b26, v70
	v_mul_f16_e32 v106, 0x3846, v106
	v_mul_f16_e32 v70, 0x3a52, v90
	v_mul_f16_e32 v112, 0xbb00, v0
	v_fmamk_f16 v7, v7, 0xbcab, v111
	v_fmamk_f16 v90, v90, 0x3a52, v2
	v_fma_f16 v2, v108, 0x39e0, -v2
	v_fma_f16 v0, v0, 0xbb00, -v106
	;; [unrolled: 1-line block ×3, first 2 shown]
	v_fmamk_f16 v108, v6, 0xb574, v106
	v_fma_f16 v6, v6, 0x3574, -v112
	v_add_f16_e32 v1, v98, v1
	v_fmac_f16_e32 v14, 0xb70e, v65
	v_add_f16_e32 v2, v2, v7
	v_fmac_f16_e32 v0, 0xb70e, v56
	v_add_f16_e32 v90, v90, v7
	v_add_f16_e32 v7, v70, v7
	v_fmac_f16_e32 v6, 0xb70e, v56
	v_fmac_f16_e32 v108, 0xb70e, v56
	v_sub_f16_e32 v65, v17, v100
	v_sub_f16_e32 v98, v1, v14
	v_add_f16_e32 v14, v14, v1
	v_add_f16_e32 v17, v100, v17
	;; [unrolled: 1-line block ×3, first 2 shown]
	v_sub_f16_e32 v106, v2, v0
	v_pack_b32_f16 v3, v72, v3
	v_pack_b32_f16 v2, v76, v81
	;; [unrolled: 1-line block ×3, first 2 shown]
	v_sub_f16_e32 v70, v7, v6
	v_add_f16_e32 v0, v6, v7
	v_pack_b32_f16 v6, v97, v5
	v_pack_b32_f16 v5, v24, v96
	;; [unrolled: 1-line block ×3, first 2 shown]
	v_sub_f16_e32 v56, v90, v108
	global_wb scope:SCOPE_SE
	s_wait_dscnt 0x0
	s_barrier_signal -1
	s_barrier_wait -1
	global_inv scope:SCOPE_SE
	ds_store_b96 v55, v[1:3]
	ds_store_b16 v55, v74 offset:12
	ds_store_b96 v57, v[4:6]
	ds_store_b16 v57, v9 offset:12
	v_pack_b32_f16 v3, v67, v19
	v_pack_b32_f16 v2, v78, v85
	;; [unrolled: 1-line block ×6, first 2 shown]
	v_add_nc_u32_e32 v7, 0, v120
	v_pack_b32_f16 v60, v106, v0
	v_pack_b32_f16 v59, v70, v100
	;; [unrolled: 1-line block ×3, first 2 shown]
	v_add_nc_u32_e32 v56, v79, v118
	v_add_f16_e64 v144, v108, v90
	ds_store_b96 v79, v[1:3]
	ds_store_b16 v79, v23 offset:12
	ds_store_b96 v89, v[4:6]
	ds_store_b16 v89, v17 offset:12
	;; [unrolled: 2-line block ×3, first 2 shown]
	global_wb scope:SCOPE_SE
	s_wait_dscnt 0x0
	s_barrier_signal -1
	s_barrier_wait -1
	global_inv scope:SCOPE_SE
	v_add_nc_u32_e32 v55, v57, v119
	ds_load_u16 v65, v54
	ds_load_u16 v113, v54 offset:350
	ds_load_u16 v153, v54 offset:460
	;; [unrolled: 1-line block ×11, first 2 shown]
	ds_load_u16 v3, v56
	ds_load_u16 v116, v54 offset:1050
	ds_load_u16 v158, v54 offset:920
	;; [unrolled: 1-line block ×14, first 2 shown]
	ds_load_u16 v17, v55
	ds_load_u16 v149, v54 offset:3720
	ds_load_u16 v171, v54 offset:3500
	;; [unrolled: 1-line block ×5, first 2 shown]
	v_lshl_add_u32 v57, v13, 1, 0
                                        ; implicit-def: $vgpr160
                                        ; implicit-def: $vgpr161
                                        ; implicit-def: $vgpr162
                                        ; implicit-def: $vgpr163
                                        ; implicit-def: $vgpr157
                                        ; implicit-def: $vgpr159
                                        ; implicit-def: $vgpr164
                                        ; implicit-def: $vgpr168
                                        ; implicit-def: $vgpr169
	s_and_saveexec_b32 s1, s0
	s_cbranch_execz .LBB0_17
; %bb.16:
	ds_load_u16 v144, v54 offset:680
	ds_load_u16 v160, v54 offset:1030
	;; [unrolled: 1-line block ×9, first 2 shown]
	ds_load_u16 v0, v57
	ds_load_u16 v157, v54 offset:3830
.LBB0_17:
	s_wait_alu 0xfffe
	s_or_b32 exec_lo, exec_lo, s1
	v_and_b32_e32 v1, 0xff, v50
	v_and_b32_e32 v2, 0xff, v53
	s_delay_alu instid0(VALU_DEP_2) | instskip(NEXT) | instid1(VALU_DEP_2)
	v_mul_lo_u16 v1, v1, 37
	v_mul_lo_u16 v2, v2, 37
	s_delay_alu instid0(VALU_DEP_2) | instskip(SKIP_1) | instid1(VALU_DEP_3)
	v_lshrrev_b16 v4, 8, v1
	v_and_b32_e32 v1, 0xff, v12
	v_lshrrev_b16 v6, 8, v2
	s_delay_alu instid0(VALU_DEP_3) | instskip(NEXT) | instid1(VALU_DEP_2)
	v_sub_nc_u16 v5, v50, v4
	v_sub_nc_u16 v7, v53, v6
	s_delay_alu instid0(VALU_DEP_2) | instskip(SKIP_1) | instid1(VALU_DEP_3)
	v_lshrrev_b16 v2, 1, v5
	v_mul_lo_u16 v5, v1, 37
	v_lshrrev_b16 v7, 1, v7
	s_delay_alu instid0(VALU_DEP_3) | instskip(SKIP_1) | instid1(VALU_DEP_4)
	v_and_b32_e32 v9, 0x7f, v2
	v_and_b32_e32 v2, 0xff, v13
	v_lshrrev_b16 v5, 8, v5
	s_delay_alu instid0(VALU_DEP_4) | instskip(NEXT) | instid1(VALU_DEP_4)
	v_and_b32_e32 v7, 0x7f, v7
	v_add_nc_u16 v4, v9, v4
	s_delay_alu instid0(VALU_DEP_4) | instskip(NEXT) | instid1(VALU_DEP_4)
	v_mul_lo_u16 v9, v2, 37
	v_sub_nc_u16 v14, v12, v5
	s_delay_alu instid0(VALU_DEP_4) | instskip(NEXT) | instid1(VALU_DEP_4)
	v_add_nc_u16 v6, v7, v6
	v_lshrrev_b16 v132, 2, v4
	s_delay_alu instid0(VALU_DEP_4) | instskip(NEXT) | instid1(VALU_DEP_4)
	v_lshrrev_b16 v4, 8, v9
	v_lshrrev_b16 v9, 1, v14
	s_delay_alu instid0(VALU_DEP_4) | instskip(NEXT) | instid1(VALU_DEP_4)
	v_lshrrev_b16 v131, 2, v6
	v_mul_lo_u16 v7, v132, 7
	s_delay_alu instid0(VALU_DEP_4) | instskip(NEXT) | instid1(VALU_DEP_4)
	v_sub_nc_u16 v14, v13, v4
	v_and_b32_e32 v9, 0x7f, v9
	v_and_b32_e32 v132, 0xffff, v132
	s_delay_alu instid0(VALU_DEP_4) | instskip(NEXT) | instid1(VALU_DEP_4)
	v_sub_nc_u16 v6, v50, v7
	v_lshrrev_b16 v7, 1, v14
	s_delay_alu instid0(VALU_DEP_4)
	v_add_nc_u16 v5, v9, v5
	v_mul_lo_u16 v9, v131, 7
	v_mul_u32_u24_e32 v132, 0x9a, v132
	v_and_b32_e32 v134, 0xff, v6
	v_and_b32_e32 v6, 0x7f, v7
	v_lshrrev_b16 v129, 2, v5
	v_sub_nc_u16 v5, v53, v9
	s_delay_alu instid0(VALU_DEP_4) | instskip(NEXT) | instid1(VALU_DEP_4)
	v_mul_u32_u24_e32 v7, 10, v134
	v_add_nc_u16 v4, v6, v4
	s_delay_alu instid0(VALU_DEP_4) | instskip(NEXT) | instid1(VALU_DEP_4)
	v_mul_lo_u16 v6, v129, 7
	v_and_b32_e32 v133, 0xff, v5
	v_lshlrev_b32_e32 v134, 1, v134
	v_lshlrev_b32_e32 v5, 2, v7
	v_lshrrev_b16 v126, 2, v4
	v_sub_nc_u16 v4, v12, v6
	v_mul_u32_u24_e32 v6, 10, v133
	global_load_b128 v[177:180], v5, s[4:5]
	v_mul_lo_u16 v7, v126, 7
	v_and_b32_e32 v130, 0xff, v4
	v_lshlrev_b32_e32 v4, 2, v6
	s_clause 0x1
	global_load_b128 v[181:184], v5, s[4:5] offset:16
	global_load_b64 v[209:210], v5, s[4:5] offset:32
	v_sub_nc_u16 v6, v13, v7
	global_load_b64 v[211:212], v4, s[4:5] offset:32
	v_mul_u32_u24_e32 v5, 10, v130
	s_clause 0x1
	global_load_b128 v[185:188], v4, s[4:5]
	global_load_b128 v[189:192], v4, s[4:5] offset:16
	v_and_b32_e32 v128, 0xff, v6
	v_lshlrev_b32_e32 v5, 2, v5
	s_clause 0x1
	global_load_b128 v[193:196], v5, s[4:5]
	global_load_b128 v[197:200], v5, s[4:5] offset:16
	v_mul_u32_u24_e32 v4, 10, v128
	s_delay_alu instid0(VALU_DEP_1)
	v_lshlrev_b32_e32 v4, 2, v4
	s_clause 0x3
	global_load_b64 v[213:214], v5, s[4:5] offset:32
	global_load_b128 v[201:204], v4, s[4:5]
	global_load_b128 v[205:208], v4, s[4:5] offset:16
	global_load_b64 v[215:216], v4, s[4:5] offset:32
	global_wb scope:SCOPE_SE
	s_wait_loadcnt_dscnt 0x0
	s_barrier_signal -1
	s_barrier_wait -1
	global_inv scope:SCOPE_SE
	v_lshrrev_b32_e32 v4, 16, v177
	v_lshrrev_b32_e32 v5, 16, v178
	;; [unrolled: 1-line block ×17, first 2 shown]
	v_mul_f16_e64 v232, v91, v4
	v_lshrrev_b32_e32 v120, 16, v195
	v_lshrrev_b32_e32 v122, 16, v196
	;; [unrolled: 1-line block ×3, first 2 shown]
	v_mul_f16_e32 v85, v124, v67
	v_mul_f16_e64 v245, v18, v70
	v_mul_f16_e64 v253, v84, v58
	v_lshrrev_b32_e32 v72, 16, v191
	v_lshrrev_b32_e32 v74, 16, v192
	;; [unrolled: 1-line block ×12, first 2 shown]
	v_mul_f16_e32 v118, v113, v4
	v_mul_f16_e64 v233, v99, v5
	v_mul_f16_e32 v111, v116, v6
	v_mul_f16_e64 v234, v94, v6
	v_mul_f16_e64 v106, v176, v7
	;; [unrolled: 1-line block ×17, first 2 shown]
	v_mul_f16_e32 v79, v123, v70
	v_mul_f16_e64 v68, v170, v120
	v_mul_f16_e64 v250, v73, v120
	;; [unrolled: 1-line block ×9, first 2 shown]
	v_mul_f16_e32 v27, v11, v127
	v_mul_f16_e64 v60, v157, v231
	v_fma_f16 v127, v113, v177, -v232
	v_fmac_f16_e64 v85, v92, v188
	v_fma_f16 v92, v123, v190, -v245
	v_fma_f16 v123, v171, v210, -v253
	v_lshrrev_b32_e32 v217, 16, v198
	v_lshrrev_b32_e32 v218, 16, v199
	v_lshrrev_b32_e32 v219, 16, v200
	v_lshrrev_b32_e32 v221, 16, v214
	v_lshrrev_b32_e32 v224, 16, v203
	v_lshrrev_b32_e32 v226, 16, v205
	v_lshrrev_b32_e32 v227, 16, v206
	v_lshrrev_b32_e32 v230, 16, v215
	v_mul_f16_e32 v115, v119, v5
	v_mul_f16_e64 v98, v174, v9
	v_mul_f16_e32 v100, v114, v14
	v_mul_f16_e32 v112, v121, v23
	v_mul_f16_e64 v86, v154, v72
	v_mul_f16_e64 v246, v95, v72
	;; [unrolled: 1-line block ×19, first 2 shown]
	v_fmac_f16_e64 v118, v91, v177
	v_fma_f16 v125, v119, v178, -v233
	v_fmac_f16_e64 v111, v94, v179
	v_fma_f16 v119, v116, v179, -v234
	;; [unrolled: 2-line block ×3, first 2 shown]
	v_fma_f16 v113, v174, v181, -v236
	v_fma_f16 v114, v114, v182, -v237
	v_fmac_f16_e64 v108, v117, v183
	v_fma_f16 v117, v175, v183, -v238
	v_fma_f16 v121, v121, v184, -v239
	v_fmac_f16_e64 v97, v71, v185
	v_fma_f16 v109, v153, v185, -v240
	v_fma_f16 v94, v124, v188, -v243
	v_fmac_f16_e64 v120, v110, v209
	v_fma_f16 v124, v173, v209, -v252
	v_fmac_f16_e64 v122, v84, v210
	v_fma_f16 v110, v145, v212, -v255
	v_fmac_f16_e64 v60, v135, v216
	v_sub_f16_e64 v135, v127, v123
	v_mul_f16_e64 v59, v155, v217
	v_mul_f16_e64 v217, v62, v217
	;; [unrolled: 1-line block ×19, first 2 shown]
	v_fmac_f16_e64 v115, v99, v178
	v_fmac_f16_e64 v98, v101, v181
	;; [unrolled: 1-line block ×5, first 2 shown]
	v_fma_f16 v104, v151, v186, -v241
	v_fma_f16 v99, v150, v187, -v242
	;; [unrolled: 1-line block ×3, first 2 shown]
	v_fmac_f16_e64 v66, v69, v196
	v_fmac_f16_e64 v96, v105, v211
	v_fma_f16 v105, v146, v211, -v254
	v_fmac_f16_e64 v102, v75, v212
	v_fma_f16 v69, v147, v197, -v27
	v_fmac_f16_e64 v74, v64, v213
	v_fma_f16 v64, v144, v201, -v222
	v_fmac_f16_e64 v19, v137, v202
	v_fmac_f16_e64 v6, v139, v204
	;; [unrolled: 1-line block ×4, first 2 shown]
	v_add_f16_e32 v27, v118, v122
	v_sub_f16_e64 v137, v125, v124
	v_sub_f16_e64 v139, v119, v121
	;; [unrolled: 1-line block ×5, first 2 shown]
	v_add_f16_e64 v146, v107, v118
	v_add_f16_e64 v147, v103, v97
	v_mul_f16_e64 v150, 0xb853, v135
	v_mul_f16_e64 v151, 0xbb47, v135
	;; [unrolled: 1-line block ×7, first 2 shown]
	v_fmac_f16_e64 v89, v61, v187
	v_fmac_f16_e64 v78, v87, v189
	v_fma_f16 v91, v172, v189, -v244
	v_fmac_f16_e64 v79, v18, v190
	v_fmac_f16_e64 v86, v95, v191
	v_fma_f16 v95, v154, v191, -v246
	v_fmac_f16_e64 v76, v63, v193
	v_fma_f16 v87, v166, v193, -v248
	;; [unrolled: 2-line block ×4, first 2 shown]
	v_fma_f16 v73, v167, v196, -v251
	v_fmac_f16_e64 v58, v11, v197
	v_fmac_f16_e64 v59, v62, v198
	v_fma_f16 v71, v155, v198, -v217
	v_fmac_f16_e64 v67, v16, v199
	v_fmac_f16_e64 v70, v80, v200
	v_fma_f16 v80, v165, v200, -v219
	v_fma_f16 v84, v156, v213, -v220
	v_fmac_f16_e64 v81, v25, v214
	v_fmac_f16_e64 v24, v10, v201
	v_fma_f16 v63, v160, v202, -v223
	v_fmac_f16_e64 v9, v138, v203
	v_fma_f16 v22, v161, v203, -v224
	v_fma_f16 v16, v162, v204, -v225
	v_fmac_f16_e64 v4, v140, v205
	v_fma_f16 v10, v163, v205, -v226
	v_fmac_f16_e64 v5, v143, v206
	v_fma_f16 v11, v169, v206, -v227
	v_fma_f16 v18, v168, v207, -v228
	;; [unrolled: 1-line block ×3, first 2 shown]
	v_fmac_f16_e64 v23, v136, v215
	v_fma_f16 v62, v159, v215, -v230
	v_fma_f16 v61, v157, v216, -v231
	v_add_f16_e64 v136, v115, v120
	v_add_f16_e64 v138, v111, v112
	v_add_f16_e64 v140, v106, v108
	v_add_f16_e64 v143, v98, v100
	v_add_f16_e64 v145, v97, v102
	v_mul_f16_e64 v154, 0xbb47, v137
	v_mul_f16_e64 v155, 0xba0c, v137
	;; [unrolled: 1-line block ×25, first 2 shown]
	v_add_f16_e64 v146, v146, v115
	v_add_f16_e64 v147, v147, v93
	v_fma_f16 v175, 0x3abb, v27, v150
	v_fma_f16 v150, v27, 0x3abb, -v150
	v_fma_f16 v176, 0x36a6, v27, v151
	v_fma_f16 v151, v27, 0x36a6, -v151
	;; [unrolled: 2-line block ×3, first 2 shown]
	v_fma_f16 v178, 0xb93d, v27, v153
	v_fma_f16 v179, 0xbbad, v27, v135
	v_fmac_f16_e64 v90, v88, v192
	v_fma_f16 v75, v148, v199, -v218
	v_fma_f16 v153, v27, 0xb93d, -v153
	;; [unrolled: 1-line block ×3, first 2 shown]
	v_fma_f16 v135, 0x36a6, v136, v154
	v_fma_f16 v154, v136, 0x36a6, -v154
	v_fma_f16 v180, 0xb93d, v136, v155
	v_fma_f16 v155, v136, 0xb93d, -v155
	;; [unrolled: 2-line block ×25, first 2 shown]
	v_add_f16_e64 v145, v146, v111
	v_add_f16_e64 v146, v147, v89
	;; [unrolled: 1-line block ×11, first 2 shown]
	v_add_f16_e32 v27, v107, v27
	v_add_f16_e64 v107, v145, v106
	v_add_f16_e64 v145, v146, v85
	v_add_f16_e64 v135, v135, v147
	v_add_f16_e64 v147, v154, v150
	v_add_f16_e64 v150, v180, v175
	v_add_f16_e64 v151, v155, v151
	v_add_f16_e64 v154, v181, v176
	v_add_f16_e64 v152, v156, v152
	v_add_f16_e64 v155, v182, v177
	v_add_f16_e64 v156, v183, v178
	v_add_f16_e64 v27, v136, v27
	v_add_f16_e32 v107, v107, v98
	v_add_f16_e64 v136, v145, v78
	v_add_f16_e64 v135, v137, v135
	;; [unrolled: 1-line block ×9, first 2 shown]
	v_sub_f16_e64 v148, v104, v105
	v_add_f16_e64 v153, v157, v153
	v_add_f16_e32 v107, v107, v100
	v_add_f16_e64 v27, v138, v27
	v_add_f16_e64 v138, v188, v145
	;; [unrolled: 1-line block ×5, first 2 shown]
	v_fma_f16 v88, v149, v214, -v221
	v_add_f16_e64 v149, v93, v96
	v_mul_f16_e64 v174, 0xbb47, v148
	v_add_f16_e64 v153, v161, v153
	v_add_f16_e32 v107, v107, v108
	v_add_f16_e64 v27, v140, v27
	v_add_f16_e64 v140, v193, v145
	v_add_f16_e64 v145, v194, v150
	v_add_f16_e64 v150, v195, v152
	v_mul_f16_e64 v152, 0xba0c, v148
	v_add_f16_e64 v143, v103, v143
	v_add_f16_e64 v146, v103, v170
	;; [unrolled: 1-line block ×7, first 2 shown]
	v_add_f16_e32 v107, v107, v112
	v_fma_f16 v153, 0x36a6, v149, v174
	v_fma_f16 v155, 0xb93d, v149, v152
	v_mul_f16_e64 v154, 0x3482, v148
	v_sub_f16_e64 v156, v99, v101
	v_add_f16_e32 v107, v107, v120
	v_add_f16_e64 v143, v153, v143
	v_add_f16_e64 v153, v155, v170
	v_mul_f16_e64 v155, 0x3beb, v148
	v_mul_f16_e64 v148, 0x3853, v148
	v_add_f16_e64 v171, v103, v171
	v_add_f16_e64 v179, v103, v197
	;; [unrolled: 1-line block ×12, first 2 shown]
	v_fma_f16 v144, v149, 0x36a6, -v174
	v_fma_f16 v157, 0xb08e, v149, v155
	v_fma_f16 v155, v149, 0xb08e, -v155
	v_fma_f16 v158, 0x3abb, v149, v148
	v_add_f16_e64 v159, v89, v90
	v_mul_f16_e64 v160, 0xbbeb, v156
	v_fma_f16 v148, v149, 0x3abb, -v148
	v_fma_f16 v152, v149, 0xb93d, -v152
	v_add_f16_e64 v144, v144, v146
	v_fma_f16 v146, 0xbbad, v149, v154
	v_fma_f16 v154, v149, 0xbbad, -v154
	v_add_f16_e64 v107, v155, v107
	v_add_f16_e64 v149, v158, v151
	v_fma_f16 v151, 0xb08e, v159, v160
	v_mul_f16_e64 v155, 0x3482, v156
	v_add_f16_e64 v103, v148, v103
	v_fma_f16 v148, v159, 0xb08e, -v160
	v_mul_f16_e64 v158, 0x3b47, v156
	v_add_f16_e64 v146, v146, v179
	v_add_f16_e64 v154, v154, v172
	;; [unrolled: 1-line block ×3, first 2 shown]
	v_fma_f16 v151, 0xbbad, v159, v155
	v_add_f16_e64 v144, v148, v144
	v_fma_f16 v148, 0x36a6, v159, v158
	v_fma_f16 v158, v159, 0x36a6, -v158
	v_add_f16_e64 v152, v152, v171
	v_fma_f16 v155, v159, 0xbbad, -v155
	v_add_f16_e64 v151, v151, v153
	v_mul_f16_e64 v153, 0xb853, v156
	v_add_f16_e64 v146, v148, v146
	v_add_f16_e64 v148, v158, v154
	v_sub_f16_e64 v154, v94, v95
	v_add_f16_e64 v157, v157, v196
	v_add_f16_e64 v152, v155, v152
	v_mul_f16_e64 v155, 0xba0c, v156
	v_fma_f16 v156, 0x3abb, v159, v153
	v_fma_f16 v153, v159, 0x3abb, -v153
	v_add_f16_e64 v158, v85, v86
	v_mul_f16_e64 v160, 0xba0c, v154
	v_fma_f16 v161, 0xb93d, v159, v155
	v_add_f16_e64 v156, v156, v157
	v_add_f16_e64 v107, v153, v107
	v_fma_f16 v153, v159, 0xb93d, -v155
	v_fma_f16 v155, 0xb93d, v158, v160
	v_fma_f16 v157, v158, 0xb93d, -v160
	v_mul_f16_e64 v159, 0x3beb, v154
	v_add_f16_e64 v149, v161, v149
	v_add_f16_e64 v103, v153, v103
	;; [unrolled: 1-line block ×3, first 2 shown]
	v_mul_f16_e64 v153, 0xb853, v154
	v_add_f16_e64 v144, v157, v144
	v_fma_f16 v155, 0xb08e, v158, v159
	v_fma_f16 v157, v158, 0xb08e, -v159
	v_mul_f16_e64 v159, 0xb482, v154
	v_fma_f16 v160, 0x3abb, v158, v153
	v_fma_f16 v153, v158, 0x3abb, -v153
	v_add_f16_e64 v151, v155, v151
	v_add_f16_e64 v152, v157, v152
	v_fma_f16 v155, 0xbbad, v158, v159
	v_add_f16_e64 v157, v82, v76
	v_add_f16_e64 v148, v153, v148
	v_mul_f16_e64 v153, 0x3b47, v154
	v_fma_f16 v154, v158, 0xbbad, -v159
	v_add_f16_e64 v155, v155, v156
	v_sub_f16_e64 v156, v91, v92
	v_add_f16_e64 v157, v157, v72
	v_fma_f16 v159, 0x36a6, v158, v153
	v_add_f16_e64 v107, v154, v107
	v_add_f16_e64 v154, v78, v79
	v_fma_f16 v153, v158, 0x36a6, -v153
	v_mul_f16_e64 v158, 0x3853, v156
	v_add_f16_e64 v157, v157, v68
	v_add_f16_e64 v146, v160, v146
	v_mul_f16_e64 v160, 0xb482, v156
	v_add_f16_e64 v103, v153, v103
	v_fma_f16 v153, 0x3abb, v154, v158
	v_add_f16_e64 v157, v157, v66
	v_add_f16_e64 v149, v159, v149
	v_fma_f16 v159, 0xbbad, v154, v160
	v_fma_f16 v160, v154, 0xbbad, -v160
	v_add_f16_e64 v151, v153, v151
	v_fma_f16 v153, v154, 0x3abb, -v158
	v_add_f16_e64 v157, v157, v58
	v_mul_f16_e64 v158, 0x3b47, v156
	v_add_f16_e64 v143, v159, v143
	v_mul_f16_e64 v159, 0xba0c, v156
	v_add_f16_e64 v152, v153, v152
	v_add_f16_e64 v153, v157, v59
	v_fma_f16 v157, 0x36a6, v154, v158
	v_add_f16_e64 v144, v160, v144
	v_fma_f16 v160, 0xb93d, v154, v159
	v_fma_f16 v159, v154, 0xb93d, -v159
	v_add_f16_e64 v153, v153, v67
	v_mul_f16_e64 v156, 0xbbeb, v156
	v_add_f16_e64 v155, v157, v155
	v_fma_f16 v157, v154, 0x36a6, -v158
	v_sub_f16_e64 v158, v87, v88
	v_add_f16_e64 v153, v153, v70
	v_add_f16_e64 v146, v160, v146
	;; [unrolled: 1-line block ×3, first 2 shown]
	v_fma_f16 v159, 0xb08e, v154, v156
	v_fma_f16 v154, v154, 0xb08e, -v156
	v_add_f16_e64 v156, v76, v81
	v_mul_f16_e64 v160, 0xb853, v158
	v_add_f16_e64 v157, v157, v107
	v_add_f16_e64 v107, v153, v74
	;; [unrolled: 1-line block ×5, first 2 shown]
	v_fma_f16 v153, 0x3abb, v156, v160
	v_mul_f16_e64 v154, 0xbb47, v158
	v_add_f16_e64 v159, v107, v81
	v_fma_f16 v107, v156, 0x3abb, -v160
	v_mul_f16_e64 v160, 0xbbeb, v158
	v_mul_f16_e64 v163, 0xba0c, v158
	v_sub_f16_e64 v164, v83, v84
	v_mul_f16_e64 v158, 0xb482, v158
	v_add_f16_e64 v137, v166, v137
	v_add_f16_e64 v139, v167, v139
	v_fma_f16 v161, 0x36a6, v156, v154
	v_fma_f16 v154, v156, 0x36a6, -v154
	v_fma_f16 v162, 0xb08e, v156, v160
	v_fma_f16 v160, v156, 0xb08e, -v160
	;; [unrolled: 2-line block ×3, first 2 shown]
	v_add_f16_e64 v166, v72, v74
	v_mul_f16_e64 v167, 0xbb47, v164
	v_fma_f16 v168, 0xbbad, v156, v158
	v_fma_f16 v156, v156, 0xbbad, -v158
	v_add_f16_e64 v153, v82, v153
	v_add_f16_e32 v107, v82, v107
	v_add_f16_e64 v161, v82, v161
	v_add_f16_e64 v154, v82, v154
	v_add_f16_e64 v162, v82, v162
	v_add_f16_e64 v160, v82, v160
	v_add_f16_e64 v165, v82, v165
	v_add_f16_e64 v163, v82, v163
	v_fma_f16 v158, 0x36a6, v166, v167
	v_add_f16_e64 v168, v82, v168
	v_mul_f16_e64 v169, 0xba0c, v164
	v_fma_f16 v167, v166, 0x36a6, -v167
	v_add_f16_e64 v82, v82, v156
	v_mul_f16_e64 v156, 0x3482, v164
	v_add_f16_e64 v153, v158, v153
	v_fma_f16 v158, 0xb93d, v166, v169
	v_add_f16_e64 v107, v167, v107
	v_fma_f16 v167, v166, 0xb93d, -v169
	v_mul_f16_e64 v169, 0x3beb, v164
	v_fma_f16 v170, 0xbbad, v166, v156
	v_fma_f16 v156, v166, 0xbbad, -v156
	v_add_f16_e64 v158, v158, v161
	v_mul_f16_e64 v164, 0x3853, v164
	v_fma_f16 v161, 0xb08e, v166, v169
	v_add_f16_e64 v154, v167, v154
	v_add_f16_e64 v156, v156, v160
	v_sub_f16_e64 v160, v77, v80
	v_add_f16_e64 v162, v170, v162
	v_add_f16_e64 v161, v161, v165
	v_fma_f16 v165, v166, 0xb08e, -v169
	v_fma_f16 v167, 0x3abb, v166, v164
	v_add_f16_e64 v169, v68, v70
	v_mul_f16_e64 v170, 0xbbeb, v160
	v_fma_f16 v164, v166, 0x3abb, -v164
	v_add_f16_e64 v163, v165, v163
	v_add_f16_e64 v165, v167, v168
	v_mul_f16_e64 v166, 0x3482, v160
	v_mul_f16_e64 v168, 0x3b47, v160
	v_add_f16_e64 v82, v164, v82
	v_fma_f16 v164, v169, 0xb08e, -v170
	v_fma_f16 v167, 0xb08e, v169, v170
	v_fma_f16 v170, 0xbbad, v169, v166
	v_fma_f16 v166, v169, 0xbbad, -v166
	v_add_f16_e64 v136, v136, v79
	v_add_f16_e64 v107, v164, v107
	v_fma_f16 v164, 0x36a6, v169, v168
	v_add_f16_e64 v153, v167, v153
	v_fma_f16 v167, v169, 0x36a6, -v168
	v_add_f16_e64 v154, v166, v154
	v_mul_f16_e64 v166, 0xb853, v160
	v_add_f16_e64 v162, v164, v162
	v_mul_f16_e64 v160, 0xba0c, v160
	v_sub_f16_e64 v164, v73, v75
	v_add_f16_e64 v158, v170, v158
	v_add_f16_e64 v156, v167, v156
	v_fma_f16 v167, 0x3abb, v169, v166
	v_fma_f16 v166, v169, 0x3abb, -v166
	v_fma_f16 v168, 0xb93d, v169, v160
	v_add_f16_e64 v170, v66, v67
	v_mul_f16_e64 v171, 0xba0c, v164
	v_fma_f16 v160, v169, 0xb93d, -v160
	v_add_f16_e64 v161, v167, v161
	v_add_f16_e64 v163, v166, v163
	;; [unrolled: 1-line block ×3, first 2 shown]
	v_fma_f16 v166, 0xb93d, v170, v171
	v_mul_f16_e64 v167, 0x3beb, v164
	v_fma_f16 v168, v170, 0xb93d, -v171
	v_add_f16_e64 v82, v160, v82
	v_mul_f16_e64 v160, 0xb853, v164
	v_add_f16_e64 v153, v166, v153
	v_fma_f16 v166, 0xb08e, v170, v167
	v_add_f16_e64 v107, v168, v107
	v_mul_f16_e64 v169, 0xb482, v164
	v_fma_f16 v168, 0x3abb, v170, v160
	v_fma_f16 v160, v170, 0x3abb, -v160
	v_fma_f16 v167, v170, 0xb08e, -v167
	v_add_f16_e64 v158, v166, v158
	v_fma_f16 v166, 0xbbad, v170, v169
	v_mul_f16_e64 v164, 0x3b47, v164
	v_add_f16_e64 v156, v160, v156
	v_sub_f16_e64 v160, v69, v71
	v_add_f16_e64 v154, v167, v154
	v_add_f16_e64 v162, v168, v162
	v_fma_f16 v167, v170, 0xbbad, -v169
	v_add_f16_e64 v161, v166, v161
	v_fma_f16 v166, 0x36a6, v170, v164
	v_add_f16_e64 v168, v58, v59
	v_mul_f16_e64 v169, 0xb482, v160
	v_add_f16_e64 v163, v167, v163
	v_fma_f16 v164, v170, 0x36a6, -v164
	v_mul_f16_e64 v167, 0x3853, v160
	v_add_f16_e64 v165, v166, v165
	v_fma_f16 v166, 0xbbad, v168, v169
	v_fma_f16 v169, v168, 0xbbad, -v169
	v_add_f16_e64 v82, v164, v82
	v_fma_f16 v164, 0x3abb, v168, v167
	v_mul_f16_e64 v170, 0xba0c, v160
	v_add_f16_e64 v153, v166, v153
	v_add_f16_e64 v166, v169, v107
	v_fma_f16 v107, v168, 0x3abb, -v167
	v_add_f16_e64 v158, v164, v158
	v_fma_f16 v164, 0xb93d, v168, v170
	v_mul_f16_e64 v167, 0x3b47, v160
	v_add_f16_e64 v136, v136, v86
	v_add_f16_e64 v154, v107, v154
	v_mul_f16_e64 v107, 0xbbeb, v160
	v_add_f16_e64 v160, v164, v162
	v_fma_f16 v162, 0x36a6, v168, v167
	v_fma_f16 v164, v168, 0x36a6, -v167
	v_add_f16_e64 v136, v136, v90
	v_fma_f16 v167, 0xb08e, v168, v107
	v_fma_f16 v107, v168, 0xb08e, -v107
	v_add_f16_e64 v161, v162, v161
	v_add_f16_e64 v162, v164, v163
	;; [unrolled: 1-line block ×5, first 2 shown]
	v_and_b32_e32 v82, 0xffff, v131
	v_add3_u32 v107, 0, v132, v134
	v_lshlrev_b32_e32 v131, 1, v133
	ds_store_b16 v107, v142
	ds_store_b16 v107, v135 offset:14
	ds_store_b16 v107, v138 offset:28
	;; [unrolled: 1-line block ×7, first 2 shown]
	v_mul_u32_u24_e32 v82, 0x9a, v82
	v_and_b32_e32 v27, 0xffff, v129
	v_add_f16_e64 v136, v136, v102
	v_fma_f16 v169, v168, 0xb93d, -v170
	ds_store_b16 v107, v141 offset:112
	ds_store_b16 v107, v139 offset:126
	ds_store_b16 v107, v137 offset:140
	v_add3_u32 v129, 0, v82, v131
	v_mul_u32_u24_e32 v27, 0x9a, v27
	v_lshlrev_b32_e32 v82, 1, v130
	ds_store_b16 v129, v136
	ds_store_b16 v129, v143 offset:14
	ds_store_b16 v129, v151 offset:28
	;; [unrolled: 1-line block ×7, first 2 shown]
	v_and_b32_e32 v103, 0xffff, v126
	v_add3_u32 v130, 0, v27, v82
	v_lshlrev_b32_e32 v82, 1, v128
	v_add_f16_e64 v156, v169, v156
	v_add_f16_e64 v163, v167, v165
	ds_store_b16 v129, v148 offset:112
	ds_store_b16 v129, v152 offset:126
	;; [unrolled: 1-line block ×3, first 2 shown]
	ds_store_b16 v130, v159
	ds_store_b16 v130, v153 offset:14
	ds_store_b16 v130, v158 offset:28
	;; [unrolled: 1-line block ×10, first 2 shown]
	s_and_saveexec_b32 s1, s0
	s_cbranch_execz .LBB0_19
; %bb.18:
	v_sub_f16_e64 v128, v64, v61
	v_add_f16_e32 v126, v24, v60
	v_sub_f16_e64 v132, v63, v62
	v_add_f16_e64 v131, v19, v23
	v_sub_f16_e64 v134, v22, v25
	v_mul_f16_e64 v139, 0xb482, v128
	v_add_f16_e64 v133, v9, v14
	v_mul_f16_e64 v140, 0x3853, v132
	v_sub_f16_e64 v136, v16, v18
	v_mul_f16_e64 v141, 0xba0c, v134
	v_fma_f16 v144, v126, 0xbbad, -v139
	v_add_f16_e64 v135, v6, v7
	v_fma_f16 v147, v131, 0x3abb, -v140
	v_sub_f16_e64 v138, v10, v11
	v_mul_f16_e64 v142, 0x3b47, v136
	v_add_f16_e64 v144, v15, v144
	v_fma_f16 v148, v133, 0xb93d, -v141
	v_fmac_f16_e64 v139, 0xbbad, v126
	v_add_f16_e64 v137, v4, v5
	v_mul_f16_e64 v143, 0xbbeb, v138
	v_add_f16_e64 v144, v147, v144
	v_mul_f16_e64 v145, 0xba0c, v128
	v_fma_f16 v149, v135, 0x36a6, -v142
	v_fmac_f16_e64 v140, 0x3abb, v131
	v_add_f16_e64 v139, v15, v139
	v_add_f16_e64 v144, v148, v144
	v_mul_f16_e64 v146, 0x3beb, v132
	v_fma_f16 v147, v137, 0xb08e, -v143
	v_fmac_f16_e64 v141, 0xb93d, v133
	v_fma_f16 v148, v126, 0xb93d, -v145
	v_add_f16_e64 v139, v140, v139
	v_add_f16_e64 v140, v149, v144
	v_fmac_f16_e64 v142, 0x36a6, v135
	v_fmac_f16_e64 v143, 0xb08e, v137
	v_add_f16_e64 v144, v15, v148
	v_add_f16_e64 v139, v141, v139
	;; [unrolled: 1-line block ×3, first 2 shown]
	v_fma_f16 v141, v131, 0xb08e, -v146
	v_mul_f16_e64 v147, 0xb853, v134
	v_fmac_f16_e64 v145, 0xb93d, v126
	v_add_f16_e64 v139, v142, v139
	v_fmac_f16_e64 v146, 0xb08e, v131
	v_add_f16_e64 v141, v141, v144
	v_fma_f16 v142, v133, 0x3abb, -v147
	v_mul_f16_e64 v144, 0xb482, v136
	v_add_f16_e64 v139, v143, v139
	v_add_f16_e64 v143, v15, v145
	v_mul_f16_e64 v145, 0xbbeb, v128
	v_add_f16_e64 v141, v142, v141
	v_fma_f16 v142, v135, 0xbbad, -v144
	v_fmac_f16_e64 v147, 0x3abb, v133
	v_add_f16_e64 v143, v146, v143
	v_mul_f16_e64 v146, 0x3482, v132
	v_add_f16_e32 v27, v15, v24
	v_add_f16_e64 v141, v142, v141
	v_fma_f16 v142, v126, 0xb08e, -v145
	v_fmac_f16_e64 v145, 0xb08e, v126
	v_mul_f16_e64 v148, 0x3b47, v138
	v_add_f16_e64 v143, v147, v143
	v_fmac_f16_e64 v144, 0xbbad, v135
	v_add_f16_e64 v142, v15, v142
	v_fma_f16 v147, v131, 0xbbad, -v146
	v_mul_f16_e64 v150, 0x3b47, v134
	v_add_f16_e64 v145, v15, v145
	v_fmac_f16_e64 v146, 0xbbad, v131
	v_add_f16_e32 v27, v27, v19
	v_fma_f16 v149, v137, 0x36a6, -v148
	v_add_f16_e64 v143, v144, v143
	v_add_f16_e64 v142, v147, v142
	v_fma_f16 v144, v133, 0x36a6, -v150
	v_mul_f16_e64 v147, 0xb853, v136
	v_fmac_f16_e64 v148, 0x36a6, v137
	v_add_f16_e64 v145, v146, v145
	v_fmac_f16_e64 v150, 0x36a6, v133
	v_add_f16_e32 v27, v27, v9
	v_add_f16_e64 v141, v149, v141
	v_add_f16_e64 v142, v144, v142
	v_fma_f16 v144, v135, 0x3abb, -v147
	v_mul_f16_e64 v149, 0xbb47, v128
	v_add_f16_e64 v143, v148, v143
	v_mul_f16_e64 v148, 0xba0c, v138
	v_add_f16_e64 v145, v150, v145
	v_fmac_f16_e64 v147, 0x3abb, v135
	v_add_f16_e32 v27, v27, v6
	v_add_f16_e64 v142, v144, v142
	v_fma_f16 v144, v126, 0x36a6, -v149
	v_mul_f16_e64 v146, 0xba0c, v132
	v_fma_f16 v152, v137, 0xb93d, -v148
	v_add_f16_e64 v145, v147, v145
	v_fmac_f16_e64 v148, 0xb93d, v137
	v_fmac_f16_e64 v149, 0x36a6, v126
	v_mul_f16_e64 v128, 0xb853, v128
	v_add_f16_e32 v27, v27, v4
	v_fma_f16 v150, v131, 0xb93d, -v146
	v_add_f16_e64 v142, v152, v142
	v_add_f16_e64 v145, v148, v145
	v_add_f16_e64 v148, v15, v149
	v_fmac_f16_e64 v146, 0xb93d, v131
	v_mul_f16_e64 v132, 0xbb47, v132
	v_fma_f16 v152, v126, 0x3abb, -v128
	v_fmac_f16_e64 v128, 0x3abb, v126
	v_add_f16_e32 v27, v27, v5
	v_add_f16_e64 v144, v15, v144
	v_mul_f16_e64 v151, 0x3482, v134
	v_add_f16_e64 v126, v146, v148
	v_fma_f16 v146, v131, 0x36a6, -v132
	v_mul_f16_e64 v134, 0xbbeb, v134
	v_add_f16_e64 v128, v15, v128
	v_fmac_f16_e64 v132, 0x36a6, v131
	v_add_f16_e32 v27, v27, v7
	v_add_f16_e64 v15, v15, v152
	v_add_f16_e64 v144, v150, v144
	v_mul_f16_e64 v150, 0x3beb, v136
	v_fma_f16 v131, v133, 0xb08e, -v134
	v_mul_f16_e64 v136, 0xba0c, v136
	v_add_f16_e64 v128, v132, v128
	v_fmac_f16_e64 v134, 0xb08e, v133
	v_fma_f16 v147, v133, 0xbbad, -v151
	v_fmac_f16_e64 v151, 0xbbad, v133
	v_add_f16_e32 v27, v27, v14
	v_add_f16_e64 v15, v146, v15
	v_fma_f16 v132, v135, 0xb93d, -v136
	v_mul_f16_e64 v133, 0xb482, v138
	v_add_f16_e64 v128, v134, v128
	v_fmac_f16_e64 v136, 0xb93d, v135
	v_add_f16_e64 v144, v147, v144
	v_fma_f16 v147, v135, 0xb08e, -v150
	v_mul_f16_e64 v149, 0x3853, v138
	v_add_f16_e64 v126, v151, v126
	v_fmac_f16_e64 v150, 0xb08e, v135
	v_add_f16_e32 v27, v27, v23
	v_add_f16_e64 v15, v131, v15
	v_mul_u32_u24_e32 v135, 0x9a, v103
	v_fma_f16 v131, v137, 0xbbad, -v133
	v_add_f16_e64 v128, v136, v128
	v_fmac_f16_e64 v133, 0xbbad, v137
	v_fma_f16 v134, v137, 0x3abb, -v149
	v_add_f16_e64 v126, v150, v126
	v_fmac_f16_e64 v149, 0x3abb, v137
	v_add_f16_e32 v27, v27, v60
	v_add_f16_e64 v136, v147, v144
	v_add_f16_e64 v15, v132, v15
	v_add3_u32 v132, 0, v135, v82
	v_add_f16_e64 v128, v133, v128
	v_add_f16_e64 v126, v149, v126
	;; [unrolled: 1-line block ×4, first 2 shown]
	ds_store_b16 v132, v27
	ds_store_b16 v132, v128 offset:14
	ds_store_b16 v132, v126 offset:28
	ds_store_b16 v132, v145 offset:42
	ds_store_b16 v132, v143 offset:56
	ds_store_b16 v132, v139 offset:70
	ds_store_b16 v132, v140 offset:84
	ds_store_b16 v132, v141 offset:98
	ds_store_b16 v132, v142 offset:112
	ds_store_b16 v132, v133 offset:126
	ds_store_b16 v132, v15 offset:140
.LBB0_19:
	s_wait_alu 0xfffe
	s_or_b32 exec_lo, exec_lo, s1
	v_add_f16_e32 v15, v65, v127
	v_add_f16_e32 v27, v127, v123
	v_sub_f16_e32 v118, v118, v122
	v_add_f16_e32 v122, v125, v124
	v_sub_f16_e32 v120, v115, v120
	v_add_f16_e32 v15, v15, v125
	v_mul_f16_e32 v115, 0x3abb, v27
	v_mul_f16_e32 v125, 0x36a6, v27
	;; [unrolled: 1-line block ×4, first 2 shown]
	v_add_f16_e32 v15, v15, v119
	v_mul_f16_e32 v27, 0xbbad, v27
	v_mul_f16_e64 v128, 0x36a6, v122
	v_fma_f16 v133, 0x3853, v118, v115
	v_fmac_f16_e32 v115, 0xb853, v118
	v_add_f16_e32 v15, v15, v116
	v_mul_f16_e64 v131, 0xb93d, v122
	v_fma_f16 v134, 0x3b47, v118, v125
	v_fmac_f16_e32 v125, 0xbb47, v118
	v_fma_f16 v135, 0x3beb, v118, v126
	v_add_f16_e32 v15, v15, v113
	v_fmac_f16_e32 v126, 0xbbeb, v118
	v_fma_f16 v136, 0x3a0c, v118, v127
	v_fmac_f16_e32 v127, 0xba0c, v118
	v_fma_f16 v137, 0x3482, v118, v27
	v_add_f16_e32 v15, v15, v114
	v_fmac_f16_e32 v27, 0xb482, v118
	v_fma_f16 v118, 0x3b47, v120, v128
	v_fmac_f16_e64 v128, 0xbb47, v120
	v_add_f16_e64 v139, v65, v115
	v_add_f16_e32 v15, v15, v117
	v_mul_f16_e64 v132, 0xbbad, v122
	v_fma_f16 v138, 0x3a0c, v120, v131
	v_add_f16_e32 v125, v65, v125
	v_fmac_f16_e64 v131, 0xba0c, v120
	v_add_f16_e32 v15, v15, v121
	v_add_f16_e32 v119, v119, v121
	v_add_f16_e64 v133, v65, v133
	v_sub_f16_e32 v111, v111, v112
	v_add_f16_e64 v125, v131, v125
	v_add_f16_e32 v15, v15, v124
	v_add_f16_e32 v124, v65, v127
	v_add_f16_e64 v127, v65, v137
	v_mul_f16_e32 v112, 0xb08e, v119
	v_add_f16_e64 v134, v65, v134
	v_add_f16_e32 v115, v15, v123
	v_add_f16_e64 v15, v128, v139
	v_mul_f16_e64 v128, 0xb08e, v122
	v_mul_f16_e32 v122, 0x3abb, v122
	v_add_f16_e64 v135, v65, v135
	v_add_f16_e32 v126, v65, v126
	v_add_f16_e64 v136, v65, v136
	v_fma_f16 v121, 0xbbeb, v120, v128
	v_fmac_f16_e64 v128, 0x3beb, v120
	v_fma_f16 v131, 0xb853, v120, v122
	v_add_f16_e32 v27, v65, v27
	v_add_f16_e64 v65, v118, v133
	v_fma_f16 v118, 0xb482, v120, v132
	v_fmac_f16_e64 v132, 0x3482, v120
	v_fmac_f16_e32 v122, 0x3853, v120
	v_add_f16_e64 v120, v128, v124
	v_add_f16_e64 v124, v131, v127
	v_fmamk_f16 v127, v111, 0x3beb, v112
	v_mul_f16_e64 v128, 0xbbad, v119
	v_add_f16_e64 v123, v138, v134
	v_add_f16_e32 v27, v122, v27
	v_fmac_f16_e32 v112, 0xbbeb, v111
	v_mul_f16_e32 v122, 0x36a6, v119
	v_add_f16_e32 v65, v127, v65
	v_fma_f16 v127, 0xb482, v111, v128
	v_add_f16_e64 v118, v118, v135
	v_add_f16_e64 v126, v132, v126
	v_add_f16_e32 v15, v112, v15
	v_fmamk_f16 v112, v111, 0xbb47, v122
	v_fmac_f16_e32 v122, 0x3b47, v111
	v_add_f16_e32 v123, v127, v123
	v_mul_f16_e32 v127, 0x3abb, v119
	v_add_f16_e32 v116, v116, v117
	v_mul_f16_e32 v117, 0xb93d, v119
	v_add_f16_e64 v121, v121, v136
	v_add_f16_e32 v112, v112, v118
	v_add_f16_e32 v118, v122, v126
	v_fmamk_f16 v119, v111, 0x3853, v127
	v_sub_f16_e32 v106, v106, v108
	v_mul_f16_e32 v108, 0xb93d, v116
	v_fmamk_f16 v122, v111, 0x3a0c, v117
	v_fmac_f16_e64 v128, 0x3482, v111
	v_fmac_f16_e32 v127, 0xb853, v111
	v_add_f16_e32 v119, v119, v121
	v_fmac_f16_e32 v117, 0xba0c, v111
	v_fmamk_f16 v111, v106, 0x3a0c, v108
	v_add_f16_e32 v121, v122, v124
	v_fmac_f16_e32 v108, 0xba0c, v106
	v_mul_f16_e32 v122, 0xb08e, v116
	v_add_f16_e32 v27, v117, v27
	v_add_f16_e32 v65, v111, v65
	v_mul_f16_e32 v111, 0x3abb, v116
	v_add_f16_e32 v15, v108, v15
	v_fmamk_f16 v108, v106, 0xbbeb, v122
	v_mul_f16_e32 v117, 0xbbad, v116
	v_add_f16_e32 v120, v127, v120
	v_fmamk_f16 v124, v106, 0x3853, v111
	v_fmac_f16_e32 v111, 0xb853, v106
	v_add_f16_e32 v108, v108, v123
	v_fmamk_f16 v123, v106, 0x3482, v117
	v_mul_f16_e32 v116, 0x36a6, v116
	v_fmac_f16_e32 v117, 0xb482, v106
	v_add_f16_e32 v113, v113, v114
	v_add_f16_e32 v114, v17, v109
	v_fmac_f16_e32 v122, 0x3beb, v106
	v_add_f16_e32 v111, v111, v118
	v_add_f16_e32 v118, v123, v119
	v_fmamk_f16 v119, v106, 0xbb47, v116
	v_add_f16_e32 v117, v117, v120
	v_sub_f16_e32 v120, v98, v100
	v_mul_f16_e32 v98, 0xbbad, v113
	v_add_f16_e32 v100, v114, v104
	v_fmac_f16_e32 v116, 0x3b47, v106
	v_mul_f16_e32 v106, 0x3abb, v113
	v_add_f16_e32 v114, v119, v121
	v_fmamk_f16 v119, v120, 0x3482, v98
	v_add_f16_e32 v121, v100, v99
	v_fmac_f16_e32 v98, 0xb482, v120
	v_add_f16_e32 v27, v116, v27
	v_fmamk_f16 v116, v120, 0xb853, v106
	v_add_f16_e32 v100, v119, v65
	v_add_f16_e32 v65, v121, v94
	;; [unrolled: 1-line block ×3, first 2 shown]
	v_mul_f16_e32 v15, 0xb93d, v113
	v_add_f16_e32 v108, v116, v108
	v_mul_f16_e32 v116, 0x36a6, v113
	v_add_f16_e32 v65, v65, v91
	v_add_f16_e32 v112, v124, v112
	v_fmamk_f16 v119, v120, 0x3a0c, v15
	v_fmac_f16_e32 v15, 0xba0c, v120
	v_fmamk_f16 v121, v120, 0xbb47, v116
	v_add_f16_e32 v65, v65, v92
	v_fmac_f16_e32 v116, 0x3b47, v120
	v_add_f16_e32 v112, v119, v112
	v_add_f16_e32 v111, v15, v111
	v_mul_f16_e32 v15, 0xb08e, v113
	v_add_f16_e32 v113, v121, v118
	v_add_f16_e32 v118, v109, v110
	;; [unrolled: 1-line block ×3, first 2 shown]
	v_sub_f16_e32 v97, v97, v102
	v_add_f16_e32 v102, v116, v117
	v_fmamk_f16 v109, v120, 0x3beb, v15
	v_mul_f16_e32 v119, 0x3abb, v118
	v_add_f16_e32 v65, v65, v101
	v_fmac_f16_e32 v15, 0xbbeb, v120
	v_add_f16_e64 v125, v128, v125
	v_add_f16_e32 v109, v109, v114
	v_fmamk_f16 v116, v97, 0x3853, v119
	v_fmac_f16_e32 v119, 0xb853, v97
	v_add_f16_e32 v65, v65, v105
	v_add_f16_e32 v114, v15, v27
	v_mul_f16_e32 v15, 0x36a6, v118
	v_add_f16_e32 v104, v104, v105
	v_add_f16_e32 v117, v17, v119
	v_mul_f16_e32 v119, 0xb93d, v118
	v_add_f16_e32 v110, v65, v110
	v_mul_f16_e32 v65, 0xb08e, v118
	v_mul_f16_e32 v118, 0xbbad, v118
	v_add_f16_e32 v122, v122, v125
	v_fmamk_f16 v121, v97, 0x3a0c, v119
	v_fmac_f16_e32 v119, 0xba0c, v97
	v_fmac_f16_e32 v106, 0x3853, v120
	v_add_f16_e32 v27, v17, v116
	v_fmamk_f16 v116, v97, 0x3b47, v15
	v_add_f16_e32 v105, v17, v121
	v_fmamk_f16 v121, v97, 0x3482, v118
	v_fmac_f16_e32 v15, 0xbb47, v97
	v_fmamk_f16 v120, v97, 0x3beb, v65
	v_fmac_f16_e32 v65, 0xbbeb, v97
	v_sub_f16_e32 v93, v93, v96
	v_mul_f16_e32 v96, 0x36a6, v104
	v_fmac_f16_e32 v118, 0xb482, v97
	v_add_f16_e32 v97, v17, v119
	v_add_f16_e32 v119, v17, v121
	v_mul_f16_e32 v121, 0xb93d, v104
	v_add_f16_e32 v106, v106, v122
	v_add_f16_e32 v116, v17, v116
	;; [unrolled: 1-line block ×5, first 2 shown]
	v_fmamk_f16 v122, v93, 0x3b47, v96
	v_add_f16_e32 v17, v17, v118
	v_fmac_f16_e32 v96, 0xbb47, v93
	v_mul_f16_e32 v118, 0xbbad, v104
	v_fmamk_f16 v123, v93, 0x3a0c, v121
	v_fmac_f16_e32 v121, 0xba0c, v93
	v_add_f16_e32 v99, v99, v101
	v_add_f16_e32 v96, v96, v117
	v_fmamk_f16 v117, v93, 0xb482, v118
	v_fmac_f16_e32 v118, 0x3482, v93
	v_add_f16_e32 v15, v121, v15
	v_mul_f16_e32 v121, 0xb08e, v104
	v_mul_f16_e32 v104, 0x3abb, v104
	v_sub_f16_e32 v89, v89, v90
	v_add_f16_e32 v65, v118, v65
	v_mul_f16_e32 v90, 0xb08e, v99
	v_fmamk_f16 v101, v93, 0xbbeb, v121
	v_fmac_f16_e32 v121, 0x3beb, v93
	v_fmamk_f16 v118, v93, 0xb853, v104
	v_add_f16_e32 v27, v122, v27
	v_fmac_f16_e32 v104, 0x3853, v93
	v_add_f16_e32 v101, v101, v105
	v_add_f16_e32 v93, v121, v97
	;; [unrolled: 1-line block ×3, first 2 shown]
	v_fmamk_f16 v105, v89, 0x3beb, v90
	v_mul_f16_e32 v118, 0xbbad, v99
	v_add_f16_e32 v116, v123, v116
	v_add_f16_e32 v17, v104, v17
	v_fmac_f16_e32 v90, 0xbbeb, v89
	v_mul_f16_e32 v104, 0x36a6, v99
	v_add_f16_e32 v27, v105, v27
	v_fmamk_f16 v105, v89, 0xb482, v118
	v_add_f16_e32 v94, v94, v95
	v_add_f16_e32 v90, v90, v96
	v_fmamk_f16 v96, v89, 0xbb47, v104
	v_fmac_f16_e32 v104, 0x3b47, v89
	v_add_f16_e32 v105, v105, v116
	v_mul_f16_e32 v116, 0x3abb, v99
	v_mul_f16_e32 v95, 0xb93d, v99
	v_sub_f16_e32 v85, v85, v86
	v_mul_f16_e32 v86, 0xb93d, v94
	v_fmac_f16_e32 v118, 0x3482, v89
	v_add_f16_e32 v65, v104, v65
	v_fmamk_f16 v99, v89, 0x3853, v116
	v_fmac_f16_e32 v116, 0xb853, v89
	v_fmamk_f16 v104, v89, 0x3a0c, v95
	v_fmac_f16_e32 v95, 0xba0c, v89
	v_fmamk_f16 v89, v85, 0x3a0c, v86
	v_add_f16_e32 v99, v99, v101
	v_fmac_f16_e32 v86, 0xba0c, v85
	v_mul_f16_e32 v101, 0xb08e, v94
	v_add_f16_e32 v15, v118, v15
	v_add_f16_e32 v27, v89, v27
	v_mul_f16_e32 v89, 0x3abb, v94
	v_add_f16_e32 v97, v104, v97
	v_add_f16_e32 v17, v95, v17
	;; [unrolled: 1-line block ×3, first 2 shown]
	v_fmamk_f16 v90, v85, 0xbbeb, v101
	v_fmac_f16_e32 v101, 0x3beb, v85
	v_mul_f16_e32 v95, 0xbbad, v94
	v_fmamk_f16 v104, v85, 0x3853, v89
	v_fmac_f16_e32 v89, 0xb853, v85
	v_add_f16_e32 v91, v91, v92
	v_add_f16_e32 v15, v101, v15
	v_fmamk_f16 v101, v85, 0x3482, v95
	v_add_f16_e32 v93, v116, v93
	v_add_f16_e32 v65, v89, v65
	v_mul_f16_e32 v89, 0x36a6, v94
	v_fmac_f16_e32 v95, 0xb482, v85
	v_add_f16_e32 v94, v101, v99
	v_add_f16_e32 v92, v3, v87
	v_sub_f16_e32 v78, v78, v79
	v_fmamk_f16 v99, v85, 0xbb47, v89
	v_mul_f16_e32 v79, 0xbbad, v91
	v_add_f16_e32 v93, v95, v93
	v_add_f16_e32 v92, v92, v83
	v_fmac_f16_e32 v89, 0x3b47, v85
	v_add_f16_e32 v95, v99, v97
	v_mul_f16_e32 v85, 0x3abb, v91
	v_fmamk_f16 v97, v78, 0x3482, v79
	v_fmac_f16_e32 v79, 0xb482, v78
	v_add_f16_e32 v117, v117, v120
	v_add_f16_e32 v90, v90, v105
	;; [unrolled: 1-line block ×4, first 2 shown]
	v_fmamk_f16 v89, v78, 0xb853, v85
	v_add_f16_e32 v99, v79, v86
	v_mul_f16_e32 v79, 0xb93d, v91
	v_add_f16_e32 v96, v96, v117
	v_add_f16_e32 v92, v92, v73
	;; [unrolled: 1-line block ×3, first 2 shown]
	v_fmac_f16_e32 v85, 0x3853, v78
	v_mul_f16_e32 v89, 0x36a6, v91
	v_fmamk_f16 v90, v78, 0x3a0c, v79
	v_fmac_f16_e32 v79, 0xba0c, v78
	v_add_f16_e32 v96, v104, v96
	v_add_f16_e32 v86, v92, v69
	v_add_f16_e32 v104, v85, v15
	v_fmamk_f16 v85, v78, 0xbb47, v89
	v_add_f16_e32 v116, v79, v65
	v_mul_f16_e32 v65, 0xb08e, v91
	v_add_f16_e32 v15, v86, v71
	v_add_f16_e32 v79, v87, v88
	;; [unrolled: 1-line block ×3, first 2 shown]
	v_sub_f16_e32 v76, v76, v81
	v_fmamk_f16 v85, v78, 0x3beb, v65
	v_add_f16_e32 v15, v15, v75
	v_fmac_f16_e32 v65, 0xbbeb, v78
	v_mul_f16_e32 v81, 0x3abb, v79
	v_fmac_f16_e32 v89, 0x3b47, v78
	v_add_f16_e32 v119, v85, v95
	v_mul_f16_e32 v85, 0xb93d, v79
	v_add_f16_e32 v15, v15, v80
	v_add_f16_e32 v120, v65, v17
	v_mul_f16_e32 v17, 0x36a6, v79
	v_mul_f16_e32 v65, 0xb08e, v79
	v_fmamk_f16 v87, v76, 0x3a0c, v85
	v_mul_f16_e32 v79, 0xbbad, v79
	v_add_f16_e32 v15, v15, v84
	v_fmamk_f16 v78, v76, 0x3853, v81
	v_add_f16_e32 v83, v83, v84
	v_add_f16_e32 v84, v3, v87
	v_fmac_f16_e32 v85, 0xba0c, v76
	v_fmamk_f16 v87, v76, 0x3482, v79
	v_fmac_f16_e32 v81, 0xb853, v76
	v_add_f16_e32 v121, v15, v88
	v_add_f16_e32 v15, v3, v78
	v_fmamk_f16 v78, v76, 0x3b47, v17
	v_fmac_f16_e32 v17, 0xbb47, v76
	v_fmamk_f16 v86, v76, 0x3beb, v65
	v_fmac_f16_e32 v65, 0xbbeb, v76
	v_sub_f16_e32 v72, v72, v74
	v_mul_f16_e32 v74, 0x36a6, v83
	v_fmac_f16_e32 v79, 0xb482, v76
	v_add_f16_e32 v76, v3, v85
	v_add_f16_e32 v85, v3, v87
	v_mul_f16_e32 v87, 0xb93d, v83
	v_add_f16_e32 v118, v89, v93
	v_add_f16_e32 v81, v3, v81
	;; [unrolled: 1-line block ×6, first 2 shown]
	v_fmamk_f16 v88, v72, 0x3b47, v74
	v_add_f16_e32 v3, v3, v79
	v_fmac_f16_e32 v74, 0xbb47, v72
	v_mul_f16_e32 v79, 0xbbad, v83
	v_fmamk_f16 v89, v72, 0x3a0c, v87
	v_fmac_f16_e32 v87, 0xba0c, v72
	v_add_f16_e32 v77, v77, v80
	v_add_f16_e32 v74, v74, v81
	v_fmamk_f16 v81, v72, 0xb482, v79
	v_fmac_f16_e32 v79, 0x3482, v72
	v_add_f16_e32 v17, v87, v17
	v_mul_f16_e32 v87, 0xb08e, v83
	v_mul_f16_e32 v83, 0x3abb, v83
	v_sub_f16_e32 v68, v68, v70
	v_add_f16_e32 v65, v79, v65
	v_mul_f16_e32 v70, 0xb08e, v77
	v_fmamk_f16 v79, v72, 0xbbeb, v87
	v_fmac_f16_e32 v87, 0x3beb, v72
	v_fmamk_f16 v80, v72, 0xb853, v83
	v_add_f16_e32 v15, v88, v15
	v_fmac_f16_e32 v83, 0x3853, v72
	v_add_f16_e32 v79, v79, v84
	v_add_f16_e32 v72, v87, v76
	;; [unrolled: 1-line block ×3, first 2 shown]
	v_fmamk_f16 v80, v68, 0x3beb, v70
	v_mul_f16_e32 v84, 0xbbad, v77
	v_add_f16_e32 v78, v89, v78
	v_add_f16_e32 v3, v83, v3
	v_fmac_f16_e32 v70, 0xbbeb, v68
	v_mul_f16_e32 v83, 0x36a6, v77
	v_add_f16_e32 v15, v80, v15
	v_fmamk_f16 v80, v68, 0xb482, v84
	v_add_f16_e32 v73, v73, v75
	v_add_f16_e32 v81, v81, v86
	;; [unrolled: 1-line block ×3, first 2 shown]
	v_fmamk_f16 v74, v68, 0xbb47, v83
	v_add_f16_e32 v78, v80, v78
	v_mul_f16_e32 v80, 0x3abb, v77
	v_mul_f16_e32 v75, 0xb93d, v77
	v_sub_f16_e32 v66, v66, v67
	v_mul_f16_e32 v67, 0xb93d, v73
	v_fmac_f16_e32 v84, 0x3482, v68
	v_fmac_f16_e32 v83, 0x3b47, v68
	v_add_f16_e32 v74, v74, v81
	v_fmamk_f16 v77, v68, 0x3853, v80
	v_fmac_f16_e32 v80, 0xb853, v68
	v_fmamk_f16 v81, v68, 0x3a0c, v75
	v_fmac_f16_e32 v75, 0xba0c, v68
	v_fmamk_f16 v68, v66, 0x3a0c, v67
	v_add_f16_e32 v77, v77, v79
	v_mul_f16_e32 v79, 0xb08e, v73
	v_fmac_f16_e32 v67, 0xba0c, v66
	v_add_f16_e32 v65, v83, v65
	v_add_f16_e32 v15, v68, v15
	v_mul_f16_e32 v68, 0x3abb, v73
	v_add_f16_e32 v72, v80, v72
	v_add_f16_e32 v3, v75, v3
	v_fmamk_f16 v75, v66, 0xbbeb, v79
	v_add_f16_e32 v67, v67, v70
	v_mul_f16_e32 v70, 0xbbad, v73
	v_fmamk_f16 v80, v66, 0x3853, v68
	v_fmac_f16_e32 v68, 0xb853, v66
	v_mul_f16_e32 v73, 0x36a6, v73
	v_add_f16_e32 v76, v81, v76
	v_add_f16_e32 v75, v75, v78
	v_fmamk_f16 v78, v66, 0x3482, v70
	v_add_f16_e32 v65, v68, v65
	v_add_f16_e32 v68, v69, v71
	v_fmac_f16_e32 v70, 0xb482, v66
	v_fmamk_f16 v71, v66, 0xbb47, v73
	v_add_f16_e32 v17, v84, v17
	v_fmac_f16_e32 v79, 0x3beb, v66
	v_sub_f16_e32 v58, v58, v59
	v_mul_f16_e32 v59, 0xbbad, v68
	v_fmac_f16_e32 v73, 0x3b47, v66
	v_add_f16_e32 v66, v70, v72
	v_add_f16_e32 v70, v71, v76
	v_mul_f16_e32 v71, 0x3abb, v68
	v_add_f16_e32 v17, v79, v17
	v_fmamk_f16 v72, v58, 0x3482, v59
	v_add_f16_e32 v3, v73, v3
	v_fmac_f16_e32 v59, 0xb482, v58
	v_mul_f16_e32 v73, 0xb93d, v68
	v_fmamk_f16 v76, v58, 0xb853, v71
	v_fmac_f16_e32 v71, 0x3853, v58
	v_add_f16_e32 v74, v80, v74
	v_add_f16_e32 v122, v72, v15
	;; [unrolled: 1-line block ×3, first 2 shown]
	v_fmamk_f16 v15, v58, 0x3a0c, v73
	v_mul_f16_e32 v59, 0x36a6, v68
	v_add_f16_e32 v125, v71, v17
	v_mul_f16_e32 v17, 0xb08e, v68
	v_add_f16_e32 v69, v78, v77
	v_add_f16_e32 v126, v15, v74
	v_fmac_f16_e32 v73, 0xba0c, v58
	v_fmamk_f16 v15, v58, 0xbb47, v59
	v_fmac_f16_e32 v59, 0x3b47, v58
	v_fmamk_f16 v67, v58, 0x3beb, v17
	v_fmac_f16_e32 v17, 0xbbeb, v58
	v_add_f16_e32 v27, v97, v27
	v_add_f16_e32 v105, v90, v96
	;; [unrolled: 1-line block ×4, first 2 shown]
	v_add_f16_e64 v128, v15, v69
	v_add_f16_e64 v131, v59, v66
	v_add_f16_e64 v132, v67, v70
	v_add_f16_e64 v133, v17, v3
	global_wb scope:SCOPE_SE
	s_wait_dscnt 0x0
	s_barrier_signal -1
	s_barrier_wait -1
	global_inv scope:SCOPE_SE
	ds_load_u16 v81, v54 offset:3190
	ds_load_u16 v66, v55
	ds_load_u16 v15, v56
	;; [unrolled: 1-line block ×3, first 2 shown]
	v_lshl_add_u32 v58, v8, 1, 0
	v_lshl_add_u32 v59, v50, 1, 0
	ds_load_u16 v94, v54 offset:1540
	ds_load_u16 v90, v54 offset:1650
	;; [unrolled: 1-line block ×17, first 2 shown]
	ds_load_u16 v68, v54
	ds_load_u16 v95, v54 offset:770
	ds_load_u16 v93, v54 offset:880
	;; [unrolled: 1-line block ×11, first 2 shown]
	ds_load_u16 v67, v58
	ds_load_u16 v78, v54 offset:3740
	global_wb scope:SCOPE_SE
	s_wait_dscnt 0x0
	s_barrier_signal -1
	s_barrier_wait -1
	global_inv scope:SCOPE_SE
	ds_store_b16 v107, v115
	ds_store_b16 v107, v100 offset:14
	ds_store_b16 v107, v108 offset:28
	ds_store_b16 v107, v112 offset:42
	ds_store_b16 v107, v113 offset:56
	ds_store_b16 v107, v109 offset:70
	ds_store_b16 v107, v114 offset:84
	ds_store_b16 v107, v102 offset:98
	ds_store_b16 v107, v111 offset:112
	ds_store_b16 v107, v106 offset:126
	ds_store_b16 v107, v98 offset:140
	ds_store_b16 v129, v110
	ds_store_b16 v129, v27 offset:14
	ds_store_b16 v129, v101 offset:28
	ds_store_b16 v129, v105 offset:42
	ds_store_b16 v129, v117 offset:56
	ds_store_b16 v129, v119 offset:70
	ds_store_b16 v129, v120 offset:84
	ds_store_b16 v129, v118 offset:98
	ds_store_b16 v129, v116 offset:112
	ds_store_b16 v129, v104 offset:126
	ds_store_b16 v129, v99 offset:140
	;; [unrolled: 11-line block ×3, first 2 shown]
	s_and_saveexec_b32 s1, s0
	s_cbranch_execz .LBB0_21
; %bb.20:
	v_add_f16_e32 v27, v0, v64
	v_sub_f16_e32 v19, v19, v23
	v_add_f16_e32 v64, v64, v61
	v_sub_f16_e32 v24, v24, v60
	v_add_f16_e32 v60, v63, v62
	v_add_f16_e32 v23, v27, v63
	v_sub_f16_e32 v9, v9, v14
	v_mul_f16_e32 v27, 0x3abb, v64
	v_mul_f16_e32 v63, 0x36a6, v64
	;; [unrolled: 1-line block ×3, first 2 shown]
	v_add_f16_e32 v23, v23, v22
	v_mul_f16_e32 v99, 0xb93d, v64
	v_mul_f16_e32 v64, 0xbbad, v64
	;; [unrolled: 1-line block ×3, first 2 shown]
	v_fmamk_f16 v104, v24, 0x3853, v27
	v_add_f16_e32 v23, v23, v16
	v_fmac_f16_e32 v27, 0xb853, v24
	v_mul_f16_e32 v101, 0xb93d, v60
	v_fmamk_f16 v105, v24, 0x3b47, v63
	v_fmac_f16_e32 v63, 0xbb47, v24
	v_add_f16_e32 v23, v23, v10
	v_fmamk_f16 v106, v24, 0x3beb, v98
	v_fmac_f16_e32 v98, 0xbbeb, v24
	v_fmamk_f16 v107, v24, 0x3a0c, v99
	v_fmac_f16_e32 v99, 0xba0c, v24
	v_add_f16_e32 v23, v23, v11
	v_fmamk_f16 v108, v24, 0x3482, v64
	v_fmac_f16_e32 v64, 0xb482, v24
	v_fmamk_f16 v24, v19, 0x3b47, v100
	v_fmac_f16_e32 v100, 0xbb47, v19
	v_add_f16_e32 v23, v23, v18
	v_add_f16_e32 v27, v0, v27
	v_mul_f16_e32 v102, 0xbbad, v60
	v_fmamk_f16 v109, v19, 0x3a0c, v101
	v_add_f16_e32 v63, v0, v63
	v_add_f16_e32 v23, v23, v25
	v_fmac_f16_e32 v101, 0xba0c, v19
	v_add_f16_e32 v27, v100, v27
	v_mul_f16_e32 v100, 0xb08e, v60
	v_mul_f16_e32 v60, 0x3abb, v60
	v_add_f16_e32 v22, v22, v25
	v_add_f16_e32 v104, v0, v104
	;; [unrolled: 1-line block ×6, first 2 shown]
	v_fmamk_f16 v25, v19, 0xbbeb, v100
	v_fmac_f16_e32 v100, 0x3beb, v19
	v_fmamk_f16 v101, v19, 0xb853, v60
	v_mul_f16_e32 v14, 0xb08e, v22
	v_add_f16_e32 v105, v0, v105
	v_add_f16_e32 v106, v0, v106
	;; [unrolled: 1-line block ×7, first 2 shown]
	v_fmamk_f16 v61, v19, 0xb482, v102
	v_fmac_f16_e32 v102, 0x3482, v19
	v_fmac_f16_e32 v60, 0x3853, v19
	v_add_f16_e32 v19, v100, v62
	v_add_f16_e32 v62, v101, v99
	v_fmamk_f16 v99, v9, 0x3beb, v14
	v_mul_f16_e32 v100, 0xbbad, v22
	v_add_f16_e32 v64, v109, v105
	v_add_f16_e32 v0, v60, v0
	v_fmac_f16_e32 v14, 0xbbeb, v9
	v_mul_f16_e32 v60, 0x36a6, v22
	v_add_f16_e32 v24, v99, v24
	v_fmamk_f16 v99, v9, 0xb482, v100
	v_add_f16_e32 v61, v61, v106
	v_add_f16_e32 v14, v14, v27
	v_fmamk_f16 v27, v9, 0xbb47, v60
	v_add_f16_e32 v16, v16, v18
	v_add_f16_e32 v64, v99, v64
	v_mul_f16_e32 v99, 0x3abb, v22
	v_mul_f16_e32 v18, 0xb93d, v22
	v_add_f16_e32 v25, v25, v107
	v_add_f16_e32 v27, v27, v61
	v_sub_f16_e32 v6, v6, v7
	v_fmamk_f16 v22, v9, 0x3853, v99
	v_mul_f16_e32 v7, 0xb93d, v16
	v_fmamk_f16 v61, v9, 0x3a0c, v18
	v_fmac_f16_e32 v100, 0x3482, v9
	v_fmac_f16_e32 v60, 0x3b47, v9
	;; [unrolled: 1-line block ×3, first 2 shown]
	v_add_f16_e32 v22, v22, v25
	v_fmac_f16_e32 v18, 0xba0c, v9
	v_fmamk_f16 v9, v6, 0x3a0c, v7
	v_add_f16_e32 v25, v61, v62
	v_mul_f16_e32 v61, 0xb08e, v16
	v_fmac_f16_e32 v7, 0xba0c, v6
	v_add_f16_e32 v63, v100, v63
	v_add_f16_e32 v9, v9, v24
	;; [unrolled: 1-line block ×3, first 2 shown]
	v_fmamk_f16 v24, v6, 0xbbeb, v61
	v_add_f16_e32 v7, v7, v14
	v_fmac_f16_e32 v61, 0x3beb, v6
	v_mul_f16_e32 v14, 0xbbad, v16
	v_mul_f16_e32 v18, 0x3abb, v16
	;; [unrolled: 1-line block ×3, first 2 shown]
	v_add_f16_e32 v10, v10, v11
	v_add_f16_e32 v61, v61, v63
	v_fmamk_f16 v63, v6, 0x3482, v14
	v_add_f16_e32 v19, v99, v19
	v_fmac_f16_e32 v14, 0xb482, v6
	v_add_f16_e32 v98, v102, v98
	v_sub_f16_e32 v4, v4, v5
	v_add_f16_e32 v11, v63, v22
	v_fmamk_f16 v22, v6, 0xbb47, v16
	v_mul_f16_e32 v5, 0xbbad, v10
	v_fmac_f16_e32 v16, 0x3b47, v6
	v_fmamk_f16 v62, v6, 0x3853, v18
	v_fmac_f16_e32 v18, 0xb853, v6
	v_add_f16_e32 v6, v14, v19
	v_mul_f16_e32 v19, 0x3abb, v10
	v_add_f16_e32 v60, v60, v98
	v_add_f16_e32 v14, v22, v25
	v_fmamk_f16 v22, v4, 0x3482, v5
	v_add_f16_e32 v0, v16, v0
	v_fmac_f16_e32 v5, 0xb482, v4
	v_mul_f16_e32 v16, 0xb93d, v10
	v_add_f16_e32 v24, v24, v64
	v_fmamk_f16 v25, v4, 0xb853, v19
	v_add_f16_e32 v18, v18, v60
	v_add_f16_e32 v5, v5, v7
	v_fmamk_f16 v7, v4, 0x3a0c, v16
	v_fmac_f16_e32 v16, 0xba0c, v4
	v_add_f16_e32 v9, v22, v9
	v_add_f16_e32 v22, v25, v24
	v_mul_f16_e32 v24, 0x36a6, v10
	v_add_f16_e32 v27, v62, v27
	v_mul_f16_e32 v10, 0xb08e, v10
	v_add_f16_e32 v16, v16, v18
	v_mul_u32_u24_e32 v18, 0x9a, v103
	v_fmamk_f16 v25, v4, 0xbb47, v24
	v_fmac_f16_e32 v19, 0x3853, v4
	v_add_f16_e32 v7, v7, v27
	v_fmac_f16_e32 v24, 0x3b47, v4
	v_fmamk_f16 v27, v4, 0x3beb, v10
	v_fmac_f16_e32 v10, 0xbbeb, v4
	v_add3_u32 v4, 0, v18, v82
	v_add_f16_e32 v11, v25, v11
	v_add_f16_e32 v19, v19, v61
	v_add_f16_e32 v6, v24, v6
	v_add_f16_e32 v14, v27, v14
	v_add_f16_e32 v0, v10, v0
	ds_store_b16 v4, v23
	ds_store_b16 v4, v9 offset:14
	ds_store_b16 v4, v22 offset:28
	;; [unrolled: 1-line block ×10, first 2 shown]
.LBB0_21:
	s_wait_alu 0xfffe
	s_or_b32 exec_lo, exec_lo, s1
	v_dual_mov_b32 v23, 0 :: v_dual_lshlrev_b32 v22, 2, v50
	v_subrev_nc_u32_e32 v6, 22, v50
	v_mul_lo_u16 v0, 0xd5, v1
	v_mul_lo_u16 v1, 0xd5, v2
	global_wb scope:SCOPE_SE
	s_wait_dscnt 0x0
	v_lshlrev_b64_e32 v[4:5], 2, v[22:23]
	s_barrier_signal -1
	v_lshrrev_b16 v0, 14, v0
	v_lshrrev_b16 v1, 14, v1
	s_barrier_wait -1
	global_inv scope:SCOPE_SE
	v_add_co_u32 v24, s0, s4, v4
	s_wait_alu 0xf1ff
	v_add_co_ci_u32_e64 v25, s0, s5, v5, s0
	v_cmp_gt_u32_e64 s0, 22, v50
	v_mul_lo_u16 v2, 0x4d, v0
	v_mul_lo_u16 v4, 0x4d, v1
	global_load_b128 v[61:64], v[24:25], off offset:280
	v_and_b32_e32 v0, 0xffff, v0
	s_wait_alu 0xf1ff
	v_cndmask_b32_e64 v14, v6, v53, s0
	v_sub_nc_u16 v5, v12, v2
	v_sub_nc_u16 v4, v13, v4
	v_mul_u32_u24_e32 v0, 0x302, v0
	s_delay_alu instid0(VALU_DEP_4) | instskip(NEXT) | instid1(VALU_DEP_4)
	v_lshlrev_b32_e32 v22, 2, v14
	v_and_b32_e32 v10, 0xff, v5
	s_delay_alu instid0(VALU_DEP_4) | instskip(SKIP_1) | instid1(VALU_DEP_4)
	v_and_b32_e32 v6, 0xff, v4
	v_lshlrev_b32_e32 v14, 1, v14
	v_lshlrev_b64_e32 v[1:2], 2, v[22:23]
	s_delay_alu instid0(VALU_DEP_4) | instskip(SKIP_1) | instid1(VALU_DEP_3)
	v_lshlrev_b32_e32 v4, 4, v10
	v_lshlrev_b32_e32 v10, 1, v10
	v_add_co_u32 v1, s0, s4, v1
	s_wait_alu 0xf1ff
	s_delay_alu instid0(VALU_DEP_4)
	v_add_co_ci_u32_e64 v2, s0, s5, v2, s0
	v_cmp_lt_u32_e64 s0, 21, v50
	v_add3_u32 v0, 0, v0, v10
	global_load_b128 v[98:101], v[1:2], off offset:280
	v_lshlrev_b32_e32 v1, 4, v6
	s_clause 0x1
	global_load_b128 v[102:105], v4, s[4:5] offset:280
	global_load_b128 v[106:109], v1, s[4:5] offset:280
	v_and_b32_e32 v1, 0xffff, v8
	v_and_b32_e32 v2, 0xffff, v31
	;; [unrolled: 1-line block ×3, first 2 shown]
	v_lshl_add_u32 v6, v6, 1, 0
	s_delay_alu instid0(VALU_DEP_4) | instskip(NEXT) | instid1(VALU_DEP_4)
	v_mul_u32_u24_e32 v1, 0x1a99, v1
	v_mul_u32_u24_e32 v2, 0x1a99, v2
	s_delay_alu instid0(VALU_DEP_2) | instskip(SKIP_1) | instid1(VALU_DEP_3)
	v_lshrrev_b32_e32 v22, 19, v1
	v_mul_u32_u24_e32 v1, 0x1a99, v4
	v_lshrrev_b32_e32 v18, 19, v2
	s_delay_alu instid0(VALU_DEP_3) | instskip(NEXT) | instid1(VALU_DEP_3)
	v_mul_lo_u16 v2, 0x4d, v22
	v_lshrrev_b32_e32 v1, 19, v1
	s_delay_alu instid0(VALU_DEP_3) | instskip(SKIP_1) | instid1(VALU_DEP_4)
	v_mul_lo_u16 v4, 0x4d, v18
	v_mul_u32_u24_e32 v10, 0x302, v22
	v_sub_nc_u16 v2, v8, v2
	s_delay_alu instid0(VALU_DEP_4) | instskip(NEXT) | instid1(VALU_DEP_4)
	v_mul_lo_u16 v1, 0x4d, v1
	v_sub_nc_u16 v4, v31, v4
	s_delay_alu instid0(VALU_DEP_3) | instskip(NEXT) | instid1(VALU_DEP_3)
	v_and_b32_e32 v60, 0xffff, v2
	v_sub_nc_u16 v1, v26, v1
	s_delay_alu instid0(VALU_DEP_3) | instskip(NEXT) | instid1(VALU_DEP_3)
	v_and_b32_e32 v19, 0xffff, v4
	v_lshlrev_b32_e32 v2, 4, v60
	s_delay_alu instid0(VALU_DEP_3) | instskip(NEXT) | instid1(VALU_DEP_3)
	v_and_b32_e32 v16, 0xffff, v1
	v_lshlrev_b32_e32 v1, 4, v19
	v_lshlrev_b32_e32 v22, 1, v60
	global_load_b128 v[110:113], v2, s[4:5] offset:280
	v_lshlrev_b32_e32 v2, 4, v16
	s_clause 0x1
	global_load_b128 v[114:117], v1, s[4:5] offset:280
	global_load_b128 v[118:121], v2, s[4:5] offset:280
	ds_load_u16 v7, v54
	ds_load_u16 v27, v54 offset:770
	ds_load_u16 v82, v54 offset:2310
	;; [unrolled: 1-line block ×4, first 2 shown]
	ds_load_u16 v9, v55
	ds_load_u16 v4, v56
	;; [unrolled: 1-line block ×3, first 2 shown]
	ds_load_u16 v124, v54 offset:1540
	ds_load_u16 v125, v54 offset:1650
	;; [unrolled: 1-line block ×25, first 2 shown]
	ds_load_u16 v11, v58
	ds_load_u16 v148, v54 offset:3740
	global_wb scope:SCOPE_SE
	s_wait_loadcnt_dscnt 0x0
	s_barrier_signal -1
	s_barrier_wait -1
	global_inv scope:SCOPE_SE
	v_add3_u32 v10, 0, v10, v22
	v_lshrrev_b32_e32 v147, 16, v61
	v_lshrrev_b32_e32 v149, 16, v62
	;; [unrolled: 1-line block ×4, first 2 shown]
	s_delay_alu instid0(VALU_DEP_4)
	v_mul_f16_e64 v152, v27, v147
	v_mul_f16_e64 v147, v95, v147
	;; [unrolled: 1-line block ×8, first 2 shown]
	v_fmac_f16_e64 v152, v95, v61
	v_fma_f16 v27, v27, v61, -v147
	v_fmac_f16_e64 v153, v94, v62
	v_fmac_f16_e64 v154, v96, v63
	v_fma_f16 v94, v82, v63, -v150
	v_fmac_f16_e64 v155, v97, v64
	v_fma_f16 v95, v122, v64, -v151
	v_fma_f16 v62, v124, v62, -v149
	v_add_f16_e64 v160, v68, v152
	v_sub_f16_e64 v167, v153, v152
	v_sub_f16_e64 v168, v154, v155
	v_add_f16_e64 v169, v7, v27
	v_lshrrev_b32_e32 v61, 16, v98
	v_lshrrev_b32_e32 v63, 16, v99
	;; [unrolled: 1-line block ×10, first 2 shown]
	v_mul_f16_e64 v156, v139, v61
	v_mul_f16_e32 v61, v93, v61
	v_mul_f16_e64 v157, v125, v63
	v_mul_f16_e32 v63, v90, v63
	;; [unrolled: 2-line block ×4, first 2 shown]
	v_lshrrev_b32_e32 v147, 16, v106
	v_lshrrev_b32_e32 v151, 16, v109
	v_add_f16_e64 v170, v62, v94
	v_sub_f16_e64 v172, v27, v62
	v_sub_f16_e64 v173, v95, v94
	v_add_f16_e64 v174, v27, v95
	v_mul_f16_e64 v176, v140, v96
	v_mul_f16_e32 v96, v92, v96
	v_mul_f16_e64 v177, v126, v97
	v_mul_f16_e32 v97, v85, v97
	;; [unrolled: 2-line block ×4, first 2 shown]
	v_mul_f16_e64 v181, v127, v149
	v_mul_f16_e64 v149, v83, v149
	;; [unrolled: 1-line block ×4, first 2 shown]
	v_fmac_f16_e64 v156, v93, v98
	v_fma_f16 v93, v139, v98, -v61
	v_fmac_f16_e64 v157, v90, v99
	v_fma_f16 v99, v125, v99, -v63
	v_fmac_f16_e64 v158, v91, v100
	v_lshrrev_b32_e32 v184, 16, v110
	v_lshrrev_b32_e32 v185, 16, v111
	;; [unrolled: 1-line block ×3, first 2 shown]
	v_fma_f16 v91, v130, v100, -v64
	v_fma_f16 v123, v123, v101, -v82
	v_sub_f16_e64 v171, v153, v154
	v_mul_f16_e64 v180, v141, v147
	v_mul_f16_e64 v147, v89, v147
	;; [unrolled: 1-line block ×4, first 2 shown]
	v_lshrrev_b32_e32 v186, 16, v112
	v_lshrrev_b32_e32 v189, 16, v115
	;; [unrolled: 1-line block ×6, first 2 shown]
	v_add_f16_e64 v63, v160, v153
	v_add_f16_e64 v125, v167, v168
	;; [unrolled: 1-line block ×3, first 2 shown]
	v_fma_f16 v82, -0.5, v170, v7
	v_add_f16_e64 v130, v172, v173
	v_fmac_f16_e64 v7, -0.5, v174
	v_fmac_f16_e64 v176, v92, v102
	v_fma_f16 v92, v140, v102, -v96
	v_fmac_f16_e64 v177, v85, v103
	v_fma_f16 v96, v126, v103, -v97
	v_fmac_f16_e64 v178, v87, v104
	v_fma_f16 v97, v131, v104, -v122
	v_fmac_f16_e64 v179, v88, v105
	v_fma_f16 v122, v135, v105, -v124
	v_fma_f16 v126, v127, v107, -v149
	v_fma_f16 v127, v132, v108, -v150
	v_mul_f16_e64 v132, v142, v184
	v_mul_f16_e64 v100, v80, v184
	;; [unrolled: 1-line block ×6, first 2 shown]
	v_add_f16_e64 v167, v9, v93
	v_add_f16_e64 v168, v99, v91
	;; [unrolled: 1-line block ×4, first 2 shown]
	v_sub_f16_e64 v162, v27, v95
	v_sub_f16_e64 v163, v62, v94
	v_sub_f16_e64 v164, v152, v153
	v_sub_f16_e64 v165, v155, v154
	v_add_f16_e64 v166, v152, v155
	v_sub_f16_e64 v152, v152, v155
	v_sub_f16_e32 v27, v62, v27
	v_sub_f16_e64 v175, v94, v95
	v_lshrrev_b32_e32 v188, 16, v114
	v_lshrrev_b32_e32 v190, 16, v116
	v_fmac_f16_e64 v159, v81, v101
	v_fmac_f16_e64 v180, v89, v106
	v_fma_f16 v124, v141, v106, -v147
	v_fmac_f16_e64 v181, v83, v107
	v_fmac_f16_e64 v182, v84, v108
	v_fma_f16 v131, v136, v109, -v151
	v_mul_f16_e64 v136, v133, v186
	v_mul_f16_e64 v103, v73, v186
	;; [unrolled: 1-line block ×8, first 2 shown]
	v_add_f16_e64 v149, v63, v154
	v_add_f16_e32 v94, v98, v94
	v_fma_f16 v88, 0xbb9c, v171, v7
	v_fmac_f16_e64 v7, 0x3b9c, v171
	v_add_f16_e64 v150, v66, v156
	v_add_f16_e64 v151, v157, v158
	v_sub_f16_e64 v153, v93, v123
	v_sub_f16_e64 v154, v99, v91
	;; [unrolled: 1-line block ×4, first 2 shown]
	v_sub_f16_e32 v93, v99, v93
	v_fmac_f16_e64 v132, v80, v110
	v_fma_f16 v142, v142, v110, -v100
	v_fmac_f16_e64 v135, v71, v111
	v_fma_f16 v111, v128, v111, -v102
	;; [unrolled: 2-line block ×3, first 2 shown]
	v_sub_f16_e64 v80, v177, v176
	v_sub_f16_e64 v100, v178, v179
	v_add_f16_e32 v102, v4, v92
	v_add_f16_e64 v104, v167, v99
	v_fma_f16 v99, -0.5, v168, v9
	v_fmac_f16_e64 v9, -0.5, v173
	v_lshrrev_b32_e32 v191, 16, v117
	v_add_f16_e64 v101, v164, v165
	v_add_f16_e64 v27, v27, v175
	v_fmac_f16_e64 v183, v86, v109
	v_mul_f16_e64 v89, v143, v188
	v_mul_f16_e64 v105, v79, v188
	;; [unrolled: 1-line block ×8, first 2 shown]
	v_sub_f16_e64 v160, v156, v157
	v_add_f16_e64 v164, v156, v159
	v_sub_f16_e64 v165, v157, v156
	v_sub_f16_e64 v156, v156, v159
	;; [unrolled: 1-line block ×3, first 2 shown]
	v_fmac_f16_e64 v136, v73, v112
	v_fma_f16 v112, v133, v112, -v103
	v_fmac_f16_e32 v85, v69, v115
	v_fma_f16 v115, v129, v115, -v106
	v_fmac_f16_e32 v83, v75, v118
	v_fmac_f16_e32 v64, v76, v119
	;; [unrolled: 1-line block ×4, first 2 shown]
	v_add_f16_e64 v73, v15, v176
	v_add_f16_e64 v76, v177, v178
	v_sub_f16_e64 v77, v176, v177
	v_sub_f16_e64 v78, v179, v178
	v_add_f16_e32 v103, v96, v97
	v_add_f16_e32 v98, v94, v95
	v_fmac_f16_e64 v88, 0x38b4, v152
	v_fmac_f16_e64 v7, 0xb8b4, v152
	v_add_f16_e64 v94, v150, v157
	v_fma_f16 v75, -0.5, v151, v66
	v_add_f16_e64 v129, v80, v100
	v_add_f16_e32 v80, v102, v96
	v_fma_f16 v102, 0xbb9c, v169, v9
	v_fmac_f16_e64 v9, 0x3b9c, v169
	v_fma_f16 v61, -0.5, v161, v68
	v_fmac_f16_e64 v68, -0.5, v166
	v_mul_f16_e64 v90, v138, v191
	v_mul_f16_e64 v108, v72, v191
	v_sub_f16_e64 v161, v159, v158
	v_fmac_f16_e32 v89, v79, v114
	v_fma_f16 v114, v143, v114, -v105
	v_fmac_f16_e32 v86, v70, v116
	v_fma_f16 v116, v134, v116, -v107
	v_fma_f16 v70, v144, v118, -v109
	;; [unrolled: 1-line block ×3, first 2 shown]
	v_sub_f16_e32 v105, v92, v122
	v_add_f16_e64 v79, v176, v179
	v_sub_f16_e64 v107, v176, v179
	v_add_f16_e32 v118, v92, v122
	v_add_f16_e64 v93, v93, v174
	v_add_f16_e64 v121, v73, v177
	v_fma_f16 v73, -0.5, v76, v15
	v_add_f16_e64 v128, v77, v78
	v_fma_f16 v100, -0.5, v103, v4
	v_fmac_f16_e32 v88, 0x34f2, v27
	v_fmac_f16_e32 v7, 0x34f2, v27
	v_add_f16_e64 v27, v94, v158
	v_fma_f16 v78, 0xbb9c, v153, v75
	v_fmac_f16_e64 v75, 0x3b9c, v153
	v_add_f16_e32 v94, v104, v91
	v_fmac_f16_e64 v102, 0x38b4, v156
	v_fmac_f16_e64 v9, 0xb8b4, v156
	v_fma_f16 v62, 0xbb9c, v162, v61
	v_fmac_f16_e64 v61, 0x3b9c, v162
	v_fma_f16 v63, 0x3b9c, v163, v68
	v_fmac_f16_e64 v68, 0xbb9c, v163
	v_fmac_f16_e32 v90, v72, v117
	v_fma_f16 v117, v138, v117, -v108
	v_sub_f16_e32 v106, v96, v97
	v_sub_f16_e64 v108, v177, v178
	v_sub_f16_e32 v109, v92, v96
	v_sub_f16_e32 v110, v122, v97
	v_add_f16_e64 v95, v160, v161
	v_fmac_f16_e32 v15, -0.5, v79
	v_fmamk_f16 v76, v105, 0xbb9c, v73
	v_fmac_f16_e32 v73, 0x3b9c, v105
	v_fmamk_f16 v103, v107, 0x3b9c, v100
	v_fmac_f16_e64 v78, 0xb8b4, v154
	v_fmac_f16_e64 v75, 0x38b4, v154
	v_add_f16_e32 v104, v94, v123
	v_fmac_f16_e32 v102, 0x34f2, v93
	v_fmac_f16_e32 v9, 0x34f2, v93
	v_fmac_f16_e32 v4, -0.5, v118
	v_fmac_f16_e32 v100, 0xbb9c, v107
	v_sub_f16_e32 v92, v96, v92
	v_sub_f16_e32 v93, v97, v122
	v_add_f16_e64 v94, v181, v182
	v_sub_f16_e64 v172, v123, v91
	v_fmac_f16_e64 v62, 0xb8b4, v163
	v_fmac_f16_e64 v61, 0x38b4, v163
	;; [unrolled: 1-line block ×4, first 2 shown]
	v_fmac_f16_e64 v66, -0.5, v164
	v_fmamk_f16 v77, v106, 0x3b9c, v15
	v_fmac_f16_e32 v15, 0xbb9c, v106
	v_add_f16_e64 v91, v27, v159
	v_fmac_f16_e32 v76, 0xb8b4, v106
	v_fmac_f16_e32 v73, 0x38b4, v106
	;; [unrolled: 1-line block ×5, first 2 shown]
	v_add_f16_e32 v27, v109, v110
	v_fmamk_f16 v106, v108, 0xbb9c, v4
	v_fmac_f16_e32 v100, 0xb8b4, v108
	v_add_f16_e32 v92, v92, v93
	v_add_f16_e64 v93, v3, v180
	v_fma_f16 v94, -0.5, v94, v3
	v_sub_f16_e64 v95, v124, v131
	v_fmac_f16_e32 v4, 0x3b9c, v108
	v_add_f16_e64 v109, v180, v183
	v_sub_f16_e64 v166, v158, v159
	v_fmac_f16_e32 v62, 0x34f2, v101
	v_fmac_f16_e32 v61, 0x34f2, v101
	;; [unrolled: 1-line block ×4, first 2 shown]
	v_fma_f16 v79, 0x3b9c, v154, v66
	v_fmac_f16_e64 v66, 0xbb9c, v154
	v_fma_f16 v101, 0x3b9c, v156, v99
	v_fmac_f16_e64 v99, 0xbb9c, v156
	v_add_f16_e32 v125, v80, v97
	v_fmac_f16_e32 v103, 0x34f2, v27
	v_fmac_f16_e32 v106, 0x38b4, v107
	;; [unrolled: 1-line block ×3, first 2 shown]
	v_add_f16_e64 v27, v93, v181
	v_fmamk_f16 v93, v95, 0xbb9c, v94
	v_sub_f16_e32 v96, v126, v127
	v_sub_f16_e64 v97, v180, v181
	v_sub_f16_e64 v108, v183, v182
	v_fmac_f16_e32 v4, 0xb8b4, v107
	v_fmac_f16_e32 v3, -0.5, v109
	v_fmac_f16_e32 v94, 0x3b9c, v95
	v_add_f16_e32 v109, v1, v124
	v_fma_f16 v71, v145, v119, -v140
	v_fma_f16 v72, v146, v120, -v141
	v_add_f16_e64 v119, v165, v166
	v_add_f16_e64 v120, v170, v172
	v_fmac_f16_e64 v79, 0xb8b4, v153
	v_fmac_f16_e64 v66, 0x38b4, v153
	;; [unrolled: 1-line block ×4, first 2 shown]
	v_fmac_f16_e32 v106, 0x34f2, v92
	v_fmac_f16_e32 v93, 0xb8b4, v96
	v_add_f16_e32 v97, v97, v108
	v_fmac_f16_e32 v4, 0x34f2, v92
	v_fmamk_f16 v92, v96, 0x3b9c, v3
	v_sub_f16_e64 v107, v181, v180
	v_sub_f16_e64 v108, v182, v183
	v_fmac_f16_e32 v94, 0x38b4, v96
	v_add_f16_e32 v110, v126, v127
	v_fmac_f16_e32 v3, 0xbb9c, v96
	v_add_f16_e32 v96, v109, v126
	v_fmac_f16_e32 v79, 0x34f2, v119
	v_fmac_f16_e32 v66, 0x34f2, v119
	;; [unrolled: 1-line block ×5, first 2 shown]
	v_add_f16_e32 v118, v107, v108
	v_fma_f16 v107, -0.5, v110, v1
	v_sub_f16_e64 v119, v180, v183
	v_fmac_f16_e32 v3, 0x38b4, v95
	v_add_f16_e32 v95, v96, v127
	v_add_f16_e64 v96, v124, v131
	v_sub_f16_e32 v110, v124, v126
	v_sub_f16_e64 v120, v131, v127
	v_add_f16_e64 v121, v121, v178
	v_fmac_f16_e32 v93, 0x34f2, v97
	v_fmac_f16_e32 v94, 0x34f2, v97
	;; [unrolled: 1-line block ×3, first 2 shown]
	v_fmamk_f16 v108, v119, 0x3b9c, v107
	v_sub_f16_e64 v97, v181, v182
	v_fmac_f16_e32 v3, 0x34f2, v118
	v_fmac_f16_e32 v1, -0.5, v96
	v_add_f16_e64 v109, v95, v131
	v_add_f16_e32 v95, v110, v120
	v_fmac_f16_e32 v107, 0xbb9c, v119
	v_sub_f16_e32 v96, v126, v124
	v_sub_f16_e64 v118, v127, v131
	v_add_f16_e64 v120, v135, v136
	v_add_f16_e64 v80, v121, v179
	v_fmac_f16_e32 v108, 0x38b4, v97
	v_fmamk_f16 v110, v97, 0xbb9c, v1
	v_fmac_f16_e32 v107, 0xb8b4, v97
	v_add_f16_e32 v96, v96, v118
	v_add_f16_e64 v118, v67, v132
	v_fma_f16 v120, -0.5, v120, v67
	v_sub_f16_e64 v121, v142, v113
	v_fmac_f16_e32 v1, 0x3b9c, v97
	v_add_f16_e64 v124, v132, v139
	v_fmac_f16_e32 v77, 0xb8b4, v105
	v_fmac_f16_e32 v15, 0x38b4, v105
	v_add_f16_e32 v105, v125, v122
	v_fmac_f16_e32 v108, 0x34f2, v95
	v_fmac_f16_e32 v110, 0x38b4, v119
	;; [unrolled: 1-line block ×3, first 2 shown]
	v_add_f16_e64 v95, v118, v135
	v_fmamk_f16 v97, v121, 0xbb9c, v120
	v_sub_f16_e32 v118, v111, v112
	v_sub_f16_e64 v122, v132, v135
	v_sub_f16_e64 v123, v139, v136
	v_fmac_f16_e32 v1, 0xb8b4, v119
	v_fmac_f16_e32 v67, -0.5, v124
	v_fmac_f16_e32 v120, 0x3b9c, v121
	v_add_f16_e64 v124, v11, v142
	v_fmac_f16_e32 v110, 0x34f2, v96
	v_fmac_f16_e32 v97, 0xb8b4, v118
	v_add_f16_e32 v119, v122, v123
	v_fmac_f16_e32 v1, 0x34f2, v96
	v_fmamk_f16 v96, v118, 0x3b9c, v67
	v_sub_f16_e64 v122, v135, v132
	v_sub_f16_e64 v123, v136, v139
	v_fmac_f16_e32 v120, 0x38b4, v118
	v_add_f16_e32 v125, v111, v112
	v_fmac_f16_e32 v67, 0xbb9c, v118
	v_add_f16_e32 v118, v124, v111
	;; [unrolled: 2-line block ×3, first 2 shown]
	v_fma_f16 v123, -0.5, v125, v11
	v_sub_f16_e64 v124, v132, v139
	v_fmac_f16_e32 v67, 0x38b4, v121
	v_add_f16_e32 v118, v118, v112
	v_add_f16_e64 v121, v142, v113
	v_sub_f16_e64 v126, v142, v111
	v_sub_f16_e32 v127, v113, v112
	v_sub_f16_e64 v111, v111, v142
	v_sub_f16_e32 v112, v112, v113
	v_fmac_f16_e32 v97, 0x34f2, v119
	v_fmac_f16_e32 v120, 0x34f2, v119
	v_fmamk_f16 v119, v124, 0x3b9c, v123
	v_sub_f16_e64 v125, v135, v136
	v_fmac_f16_e32 v11, -0.5, v121
	v_add_f16_e32 v118, v118, v113
	v_fmac_f16_e32 v123, 0xbb9c, v124
	v_add_f16_e32 v113, v85, v86
	v_add_f16_e32 v111, v111, v112
	;; [unrolled: 1-line block ×3, first 2 shown]
	v_fma_f16 v87, 0x3b9c, v152, v82
	v_fmac_f16_e64 v82, 0xbb9c, v152
	v_fmac_f16_e64 v77, 0x34f2, v129
	;; [unrolled: 1-line block ×3, first 2 shown]
	v_fmac_f16_e32 v96, 0x34f2, v122
	v_fmac_f16_e32 v67, 0x34f2, v122
	;; [unrolled: 1-line block ×3, first 2 shown]
	v_add_f16_e32 v121, v126, v127
	v_fmamk_f16 v122, v125, 0xbb9c, v11
	v_fmac_f16_e32 v123, 0xb8b4, v125
	v_fma_f16 v113, -0.5, v113, v65
	v_sub_f16_e32 v126, v114, v117
	v_fmac_f16_e32 v11, 0x3b9c, v125
	v_add_f16_e32 v112, v112, v85
	v_add_f16_e64 v129, v89, v90
	v_fmac_f16_e64 v87, 0x38b4, v171
	v_fmac_f16_e64 v82, 0xb8b4, v171
	;; [unrolled: 1-line block ×4, first 2 shown]
	v_fmac_f16_e32 v119, 0x34f2, v121
	v_fmac_f16_e32 v122, 0x38b4, v124
	;; [unrolled: 1-line block ×3, first 2 shown]
	v_fmamk_f16 v121, v126, 0xbb9c, v113
	v_sub_f16_e32 v125, v115, v116
	v_sub_f16_e32 v127, v89, v85
	v_sub_f16_e64 v128, v90, v86
	v_fmac_f16_e32 v11, 0xb8b4, v124
	v_add_f16_e32 v112, v112, v86
	v_fmac_f16_e64 v65, -0.5, v129
	v_fmac_f16_e32 v113, 0x3b9c, v126
	v_add_f16_e64 v129, v5, v114
	v_fmac_f16_e64 v87, 0x34f2, v130
	v_fmac_f16_e64 v82, 0x34f2, v130
	v_fmac_f16_e32 v122, 0x34f2, v111
	v_fmac_f16_e32 v121, 0xb8b4, v125
	v_add_f16_e64 v124, v127, v128
	v_fmac_f16_e32 v11, 0x34f2, v111
	v_add_f16_e32 v111, v112, v90
	v_fmamk_f16 v112, v125, 0x3b9c, v65
	v_sub_f16_e32 v127, v85, v89
	v_sub_f16_e64 v128, v86, v90
	v_fmac_f16_e32 v113, 0x38b4, v125
	v_add_f16_e64 v130, v115, v116
	v_fmac_f16_e32 v65, 0xbb9c, v125
	v_add_f16_e64 v125, v129, v115
	v_add_f16_e64 v127, v127, v128
	v_sub_f16_e32 v89, v89, v90
	v_fma_f16 v128, -0.5, v130, v5
	v_fmac_f16_e32 v121, 0x34f2, v124
	v_add_f16_e32 v90, v125, v116
	v_add_f16_e32 v125, v114, v117
	v_fmac_f16_e32 v112, 0xb8b4, v126
	v_fmac_f16_e32 v113, 0x34f2, v124
	v_fmac_f16_e32 v65, 0x38b4, v126
	v_fma_f16 v124, 0x3b9c, v89, v128
	v_sub_f16_e32 v85, v85, v86
	v_sub_f16_e32 v86, v114, v115
	;; [unrolled: 1-line block ×3, first 2 shown]
	v_fmac_f16_e32 v5, -0.5, v125
	v_add_f16_e32 v125, v90, v117
	v_fmac_f16_e64 v128, 0xbb9c, v89
	v_sub_f16_e32 v90, v115, v114
	v_sub_f16_e32 v114, v116, v117
	v_add_f16_e32 v115, v64, v81
	v_fmac_f16_e32 v124, 0x38b4, v85
	v_add_f16_e32 v86, v86, v126
	v_fmamk_f16 v126, v85, 0xbb9c, v5
	v_fmac_f16_e64 v128, 0xb8b4, v85
	v_add_f16_e32 v90, v90, v114
	v_fmac_f16_e32 v5, 0x3b9c, v85
	v_add_f16_e32 v85, v17, v83
	v_fma_f16 v114, -0.5, v115, v17
	v_sub_f16_e32 v115, v70, v69
	v_fmac_f16_e32 v112, 0x34f2, v127
	v_fmac_f16_e32 v65, 0x34f2, v127
	;; [unrolled: 1-line block ×4, first 2 shown]
	v_fmac_f16_e64 v128, 0x34f2, v86
	v_fmac_f16_e32 v5, 0xb8b4, v89
	v_add_f16_e32 v85, v85, v64
	v_fmamk_f16 v86, v115, 0xbb9c, v114
	v_sub_f16_e32 v89, v71, v72
	v_sub_f16_e32 v116, v83, v64
	;; [unrolled: 1-line block ×3, first 2 shown]
	v_fmac_f16_e32 v114, 0x3b9c, v115
	v_add_f16_e32 v127, v83, v84
	v_add_f16_e32 v85, v85, v81
	v_fmac_f16_e32 v86, 0xb8b4, v89
	v_add_f16_e32 v116, v116, v117
	v_fmac_f16_e32 v114, 0x38b4, v89
	v_fmac_f16_e32 v17, -0.5, v127
	v_sub_f16_e32 v117, v64, v83
	v_sub_f16_e32 v127, v81, v84
	v_fmac_f16_e32 v126, 0x34f2, v90
	v_fmac_f16_e32 v5, 0x34f2, v90
	v_add_f16_e32 v85, v85, v84
	v_fmac_f16_e32 v86, 0x34f2, v116
	v_fmac_f16_e32 v114, 0x34f2, v116
	v_fmamk_f16 v90, v89, 0x3b9c, v17
	v_add_f16_e32 v116, v71, v72
	v_fmac_f16_e32 v17, 0xbb9c, v89
	v_sub_f16_e32 v83, v83, v84
	v_add_f16_e32 v84, v117, v127
	v_add_f16_e32 v117, v70, v69
	v_add_f16_e32 v89, v2, v70
	v_fma_f16 v116, -0.5, v116, v2
	v_fmac_f16_e32 v90, 0xb8b4, v115
	v_fmac_f16_e32 v17, 0x38b4, v115
	v_sub_f16_e32 v64, v64, v81
	v_fmac_f16_e32 v2, -0.5, v117
	v_add_f16_e32 v89, v89, v71
	v_fmamk_f16 v115, v83, 0x3b9c, v116
	v_fmac_f16_e32 v90, 0x34f2, v84
	v_fmac_f16_e32 v17, 0x34f2, v84
	v_sub_f16_e32 v84, v70, v71
	v_fmac_f16_e32 v116, 0xbb9c, v83
	v_fmamk_f16 v117, v64, 0xbb9c, v2
	v_sub_f16_e32 v70, v71, v70
	v_sub_f16_e32 v71, v72, v69
	v_fmac_f16_e32 v2, 0x3b9c, v64
	v_fmac_f16_e32 v115, 0x38b4, v64
	;; [unrolled: 1-line block ×4, first 2 shown]
	v_add_f16_e32 v64, v70, v71
	v_fmac_f16_e32 v2, 0xb8b4, v83
	v_add_f16_e64 v74, v149, v155
	v_add_f16_e64 v27, v27, v182
	;; [unrolled: 1-line block ×3, first 2 shown]
	v_fmac_f16_e32 v117, 0x34f2, v64
	v_fmac_f16_e32 v2, 0x34f2, v64
	s_wait_alu 0xf1ff
	v_cndmask_b32_e64 v64, 0, 0x302, s0
	v_add_f16_e64 v27, v27, v183
	v_add_f16_e32 v81, v89, v72
	v_sub_f16_e32 v89, v69, v72
	ds_store_b16 v54, v74
	ds_store_b16 v54, v62 offset:154
	ds_store_b16 v54, v63 offset:308
	;; [unrolled: 1-line block ×4, first 2 shown]
	v_add3_u32 v14, 0, v64, v14
	ds_store_b16 v14, v91
	ds_store_b16 v14, v78 offset:154
	ds_store_b16 v14, v79 offset:308
	ds_store_b16 v14, v66 offset:462
	ds_store_b16 v14, v75 offset:616
	ds_store_b16 v0, v80
	ds_store_b16 v0, v76 offset:154
	ds_store_b16 v0, v77 offset:308
	;; [unrolled: 1-line block ×4, first 2 shown]
	v_mul_u32_u24_e32 v15, 0x302, v18
	v_lshlrev_b32_e32 v18, 1, v19
	v_add_f16_e64 v95, v95, v139
	v_add_f16_e32 v72, v84, v89
	ds_store_b16 v6, v27 offset:1540
	ds_store_b16 v6, v93 offset:1694
	;; [unrolled: 1-line block ×5, first 2 shown]
	v_add_f16_e32 v127, v81, v69
	v_add3_u32 v3, 0, v15, v18
	ds_store_b16 v10, v95
	ds_store_b16 v10, v97 offset:154
	ds_store_b16 v10, v96 offset:308
	;; [unrolled: 1-line block ×4, first 2 shown]
	v_fmac_f16_e32 v115, 0x34f2, v72
	v_fmac_f16_e32 v116, 0x34f2, v72
	v_lshl_add_u32 v15, v16, 1, 0
	ds_store_b16 v3, v111
	ds_store_b16 v3, v121 offset:154
	ds_store_b16 v3, v112 offset:308
	;; [unrolled: 1-line block ×9, first 2 shown]
	global_wb scope:SCOPE_SE
	s_wait_dscnt 0x0
	s_barrier_signal -1
	s_barrier_wait -1
	global_inv scope:SCOPE_SE
	ds_load_u16 v66, v54 offset:3190
	ds_load_u16 v65, v55
	ds_load_u16 v69, v56
	;; [unrolled: 1-line block ×3, first 2 shown]
	ds_load_u16 v61, v54 offset:1540
	ds_load_u16 v67, v54 offset:1650
	;; [unrolled: 1-line block ×17, first 2 shown]
	ds_load_u16 v60, v54
	ds_load_u16 v62, v54 offset:770
	ds_load_u16 v70, v54 offset:880
	;; [unrolled: 1-line block ×11, first 2 shown]
	ds_load_u16 v76, v58
	ds_load_u16 v97, v54 offset:3740
	global_wb scope:SCOPE_SE
	s_wait_dscnt 0x0
	s_barrier_signal -1
	s_barrier_wait -1
	global_inv scope:SCOPE_SE
	ds_store_b16 v54, v98
	ds_store_b16 v54, v87 offset:154
	ds_store_b16 v54, v88 offset:308
	ds_store_b16 v54, v7 offset:462
	ds_store_b16 v54, v82 offset:616
	ds_store_b16 v14, v104
	ds_store_b16 v14, v101 offset:154
	ds_store_b16 v14, v102 offset:308
	ds_store_b16 v14, v9 offset:462
	ds_store_b16 v14, v99 offset:616
	;; [unrolled: 5-line block ×3, first 2 shown]
	ds_store_b16 v6, v109 offset:1540
	ds_store_b16 v6, v108 offset:1694
	;; [unrolled: 1-line block ×5, first 2 shown]
	ds_store_b16 v10, v118
	ds_store_b16 v10, v119 offset:154
	ds_store_b16 v10, v122 offset:308
	;; [unrolled: 1-line block ×4, first 2 shown]
	ds_store_b16 v3, v125
	ds_store_b16 v3, v124 offset:154
	ds_store_b16 v3, v126 offset:308
	;; [unrolled: 1-line block ×9, first 2 shown]
	global_wb scope:SCOPE_SE
	s_wait_dscnt 0x0
	s_barrier_signal -1
	s_barrier_wait -1
	global_inv scope:SCOPE_SE
	s_and_saveexec_b32 s0, vcc_lo
	s_cbranch_execz .LBB0_23
; %bb.22:
	v_lshlrev_b32_e32 v22, 2, v26
	s_delay_alu instid0(VALU_DEP_1) | instskip(SKIP_1) | instid1(VALU_DEP_1)
	v_lshlrev_b64_e32 v[0:1], 2, v[22:23]
	v_lshlrev_b32_e32 v22, 2, v31
	v_lshlrev_b64_e32 v[2:3], 2, v[22:23]
	v_lshlrev_b32_e32 v22, 2, v8
	s_delay_alu instid0(VALU_DEP_4) | instskip(SKIP_2) | instid1(VALU_DEP_3)
	v_add_co_u32 v0, vcc_lo, s4, v0
	s_wait_alu 0xfffd
	v_add_co_ci_u32_e32 v1, vcc_lo, s5, v1, vcc_lo
	v_lshlrev_b64_e32 v[8:9], 2, v[22:23]
	v_lshlrev_b32_e32 v22, 2, v13
	global_load_b128 v[4:7], v[0:1], off offset:1512
	v_add_co_u32 v0, vcc_lo, s4, v2
	v_lshlrev_b64_e32 v[13:14], 2, v[22:23]
	s_wait_alu 0xfffd
	v_add_co_ci_u32_e32 v1, vcc_lo, s5, v3, vcc_lo
	v_add_co_u32 v8, vcc_lo, s4, v8
	s_wait_alu 0xfffd
	v_add_co_ci_u32_e32 v9, vcc_lo, s5, v9, vcc_lo
	global_load_b128 v[0:3], v[0:1], off offset:1512
	v_add_co_u32 v13, vcc_lo, s4, v13
	global_load_b128 v[8:11], v[8:9], off offset:1512
	s_wait_alu 0xfffd
	v_add_co_ci_u32_e32 v14, vcc_lo, s5, v14, vcc_lo
	v_lshlrev_b32_e32 v22, 2, v12
	global_load_b128 v[16:19], v[13:14], off offset:1512
	v_lshlrev_b64_e32 v[12:13], 2, v[22:23]
	v_lshlrev_b32_e32 v22, 2, v53
	s_delay_alu instid0(VALU_DEP_2) | instskip(SKIP_1) | instid1(VALU_DEP_3)
	v_add_co_u32 v12, vcc_lo, s4, v12
	s_wait_alu 0xfffd
	v_add_co_ci_u32_e32 v13, vcc_lo, s5, v13, vcc_lo
	s_delay_alu instid0(VALU_DEP_3)
	v_lshlrev_b64_e32 v[22:23], 2, v[22:23]
	global_load_b128 v[12:15], v[12:13], off offset:1512
	ds_load_u16 v27, v59 offset:660
	ds_load_u16 v59, v59 offset:550
	ds_load_u16 v58, v58
	ds_load_u16 v82, v57
	ds_load_u16 v57, v54 offset:3740
	ds_load_u16 v87, v54 offset:3630
	ds_load_u16 v88, v54 offset:3520
	ds_load_u16 v109, v54 offset:3410
	ds_load_u16 v98, v54 offset:3300
	ds_load_u16 v110, v54 offset:1430
	ds_load_u16 v111, v54 offset:1320
	ds_load_u16 v112, v54 offset:1210
	ds_load_u16 v113, v54 offset:1100
	ds_load_u16 v99, v54 offset:990
	ds_load_u16 v100, v54 offset:880
	ds_load_u16 v114, v54 offset:2310
	ds_load_u16 v53, v54 offset:2200
	ds_load_u16 v115, v54 offset:2090
	ds_load_u16 v116, v54 offset:1980
	ds_load_u16 v117, v54 offset:1870
	ds_load_u16 v118, v54 offset:1760
	ds_load_u16 v119, v54 offset:1650
	ds_load_u16 v120, v54 offset:3190
	ds_load_u16 v121, v54 offset:3080
	v_add_co_u32 v22, vcc_lo, s4, v22
	s_wait_alu 0xfffd
	v_add_co_ci_u32_e32 v23, vcc_lo, s5, v23, vcc_lo
	ds_load_u16 v122, v54 offset:2970
	ds_load_u16 v123, v54 offset:2860
	;; [unrolled: 1-line block ×6, first 2 shown]
	s_clause 0x1
	global_load_b128 v[101:104], v[24:25], off offset:1512
	global_load_b128 v[105:108], v[22:23], off offset:1512
	s_wait_loadcnt 0x6
	v_lshrrev_b32_e32 v24, 16, v4
	v_lshrrev_b32_e32 v25, 16, v5
	;; [unrolled: 1-line block ×4, first 2 shown]
	s_delay_alu instid0(VALU_DEP_4) | instskip(NEXT) | instid1(VALU_DEP_4)
	v_mul_f16_e32 v22, v94, v24
	v_mul_f16_e32 v23, v95, v25
	s_delay_alu instid0(VALU_DEP_4) | instskip(NEXT) | instid1(VALU_DEP_4)
	v_mul_f16_e64 v130, v97, v128
	v_mul_f16_e64 v131, v96, v129
	s_wait_dscnt 0x14
	v_mul_f16_e32 v24, v110, v24
	v_mul_f16_e64 v128, v57, v128
	s_wait_dscnt 0xd
	v_mul_f16_e32 v25, v53, v25
	s_wait_dscnt 0x5
	v_mul_f16_e64 v129, v122, v129
	s_wait_loadcnt 0x5
	v_lshrrev_b32_e32 v132, 16, v0
	v_lshrrev_b32_e32 v133, 16, v1
	;; [unrolled: 1-line block ×4, first 2 shown]
	v_fma_f16 v22, v4, v110, -v22
	v_fma_f16 v23, v5, v53, -v23
	v_fma_f16 v53, v7, v57, -v130
	v_fma_f16 v57, v6, v122, -v131
	v_fmac_f16_e32 v24, v94, v4
	v_fmac_f16_e64 v128, v97, v7
	v_fmac_f16_e32 v25, v95, v5
	v_fmac_f16_e64 v129, v96, v6
	v_mul_f16_e64 v4, v93, v132
	v_mul_f16_e64 v5, v90, v133
	;; [unrolled: 1-line block ×7, first 2 shown]
	s_wait_dscnt 0x4
	v_mul_f16_e64 v97, v123, v134
	s_wait_loadcnt 0x4
	v_lshrrev_b32_e32 v110, 16, v8
	v_lshrrev_b32_e32 v122, 16, v9
	;; [unrolled: 1-line block ×4, first 2 shown]
	v_sub_f16_e64 v132, v22, v23
	v_sub_f16_e64 v133, v53, v57
	v_add_f16_e64 v134, v23, v57
	v_sub_f16_e64 v135, v24, v128
	v_sub_f16_e64 v137, v24, v25
	v_sub_f16_e64 v138, v128, v129
	v_add_f16_e64 v139, v25, v129
	v_sub_f16_e64 v140, v22, v53
	;; [unrolled: 4-line block ×3, first 2 shown]
	v_add_f16_e64 v147, v24, v128
	v_add_f16_e32 v22, v22, v27
	v_add_f16_e32 v24, v89, v24
	v_fma_f16 v4, v0, v111, -v4
	v_fma_f16 v111, v1, v115, -v5
	;; [unrolled: 1-line block ×4, first 2 shown]
	v_fmac_f16_e32 v94, v93, v0
	v_fmac_f16_e32 v95, v92, v3
	;; [unrolled: 1-line block ×4, first 2 shown]
	v_mul_f16_e32 v5, v86, v110
	v_mul_f16_e32 v6, v83, v122
	v_mul_f16_e64 v7, v85, v131
	v_mul_f16_e64 v90, v84, v130
	;; [unrolled: 1-line block ×3, first 2 shown]
	v_mul_f16_e32 v93, v116, v122
	s_wait_loadcnt 0x3
	v_lshrrev_b32_e32 v122, 16, v16
	v_lshrrev_b32_e32 v131, 16, v19
	v_sub_f16_e64 v136, v25, v129
	v_sub_f16_e64 v141, v23, v57
	;; [unrolled: 1-line block ×3, first 2 shown]
	v_mul_f16_e32 v91, v112, v110
	s_wait_dscnt 0x3
	v_mul_f16_e64 v110, v124, v130
	v_lshrrev_b32_e32 v123, 16, v17
	v_lshrrev_b32_e32 v130, 16, v18
	v_add_f16_e64 v132, v132, v133
	v_fma_f16 v2, -0.5, v134, v27
	v_add_f16_e64 v133, v137, v138
	v_fma_f16 v3, -0.5, v139, v89
	;; [unrolled: 2-line block ×3, first 2 shown]
	v_add_f16_e32 v22, v23, v22
	v_add_f16_e32 v23, v24, v25
	v_sub_f16_e32 v24, v4, v111
	v_sub_f16_e32 v25, v87, v115
	v_add_f16_e32 v89, v111, v115
	v_sub_f16_e64 v137, v94, v95
	v_sub_f16_e64 v139, v94, v96
	;; [unrolled: 1-line block ×3, first 2 shown]
	v_add_f16_e64 v143, v96, v97
	v_add_f16_e64 v148, v4, v87
	v_sub_f16_e64 v149, v96, v94
	v_sub_f16_e64 v150, v97, v95
	v_add_f16_e64 v151, v94, v95
	v_add_f16_e32 v94, v81, v94
	v_fma_f16 v112, v8, v112, -v5
	v_fma_f16 v116, v9, v116, -v6
	;; [unrolled: 1-line block ×4, first 2 shown]
	v_fmac_f16_e32 v93, v83, v9
	v_mul_f16_e32 v9, v80, v122
	v_mul_f16_e64 v83, v79, v131
	v_fma_f16 v0, -0.5, v144, v27
	v_add_f16_e64 v27, v145, v146
	v_sub_f16_e64 v146, v111, v4
	v_sub_f16_e64 v147, v115, v87
	v_add_f16_e64 v152, v4, v59
	v_fmac_f16_e32 v91, v86, v8
	v_fmac_f16_e32 v92, v85, v11
	;; [unrolled: 1-line block ×3, first 2 shown]
	v_mul_f16_e32 v8, v77, v123
	v_mul_f16_e32 v85, v117, v123
	s_wait_dscnt 0x2
	v_mul_f16_e64 v123, v125, v130
	v_mul_f16_e32 v84, v113, v122
	v_mul_f16_e64 v122, v109, v131
	s_wait_loadcnt 0x2
	v_lshrrev_b32_e32 v131, 16, v14
	v_add_f16_e32 v57, v57, v22
	v_add_f16_e64 v86, v23, v129
	v_add_f16_e64 v129, v24, v25
	v_fma_f16 v23, -0.5, v89, v59
	v_add_f16_e64 v89, v139, v142
	v_fma_f16 v24, -0.5, v143, v81
	v_fma_f16 v11, -0.5, v148, v59
	v_add_f16_e64 v142, v149, v150
	v_fma_f16 v22, -0.5, v151, v81
	v_add_f16_e32 v59, v94, v96
	v_sub_f16_e32 v81, v112, v116
	v_sub_f16_e32 v94, v88, v90
	v_sub_f16_e64 v149, v112, v88
	v_sub_f16_e64 v151, v116, v112
	v_add_f16_e64 v154, v112, v88
	v_add_f16_e32 v112, v112, v58
	v_fma_f16 v113, v16, v113, -v9
	v_fma_f16 v109, v19, v109, -v83
	v_sub_f16_e64 v138, v96, v97
	v_sub_f16_e64 v145, v111, v115
	v_mul_f16_e64 v10, v78, v130
	v_fma_f16 v7, 0xbb9c, v141, v1
	v_fmac_f16_e64 v1, 0x3b9c, v141
	v_add_f16_e64 v139, v146, v147
	v_add_f16_e64 v25, v111, v152
	v_add_f16_e32 v96, v116, v90
	v_sub_f16_e32 v111, v91, v92
	v_sub_f16_e64 v146, v91, v93
	v_sub_f16_e64 v147, v92, v110
	;; [unrolled: 1-line block ×5, first 2 shown]
	v_add_f16_e64 v157, v91, v92
	v_add_f16_e32 v91, v76, v91
	v_fma_f16 v117, v17, v117, -v8
	v_fmac_f16_e32 v85, v77, v17
	v_fmac_f16_e32 v123, v78, v18
	;; [unrolled: 1-line block ×3, first 2 shown]
	v_mul_f16_e64 v83, v72, v131
	v_add_f16_e32 v94, v81, v94
	v_add_f16_e32 v81, v116, v112
	;; [unrolled: 1-line block ×3, first 2 shown]
	v_sub_f16_e64 v144, v4, v87
	v_lshrrev_b32_e32 v124, 16, v12
	v_fma_f16 v5, 0x3b9c, v140, v3
	v_fma_f16 v6, 0x3b9c, v136, v0
	v_fmac_f16_e64 v0, 0xbb9c, v136
	v_fmac_f16_e64 v3, 0xbb9c, v140
	v_add_f16_e64 v148, v93, v110
	v_sub_f16_e64 v152, v90, v88
	v_fma_f16 v125, v18, v125, -v10
	v_fmac_f16_e32 v122, v79, v19
	v_fmac_f16_e64 v7, 0x38b4, v140
	v_fmac_f16_e64 v1, 0xb8b4, v140
	v_add_f16_e64 v9, v128, v86
	v_add_f16_e32 v25, v115, v25
	v_fma_f16 v77, -0.5, v96, v58
	v_add_f16_e64 v96, v146, v147
	v_add_f16_e64 v115, v155, v156
	v_add_f16_e32 v86, v91, v93
	v_sub_f16_e32 v91, v117, v113
	v_sub_f16_e32 v112, v85, v123
	v_sub_f16_e64 v140, v113, v109
	v_sub_f16_e64 v147, v113, v117
	v_add_f16_e32 v113, v113, v82
	v_add_f16_e64 v156, v75, v84
	s_wait_dscnt 0x1
	v_fma_f16 v160, v14, v126, -v83
	v_fma_f16 v83, -0.5, v116, v82
	v_fma_f16 v4, 0xbb9c, v135, v2
	v_fmac_f16_e64 v2, 0x3b9c, v135
	v_sub_f16_e64 v143, v93, v110
	v_mul_f16_e32 v19, v74, v124
	v_fmac_f16_e64 v5, 0x38b4, v141
	v_fmac_f16_e64 v6, 0xb8b4, v135
	;; [unrolled: 1-line block ×4, first 2 shown]
	v_fma_f16 v16, 0x3b9c, v144, v24
	v_fmac_f16_e64 v24, 0xbb9c, v144
	v_add_f16_e32 v59, v59, v97
	v_fma_f16 v78, -0.5, v148, v76
	v_add_f16_e64 v97, v151, v152
	v_sub_f16_e32 v93, v125, v109
	v_sub_f16_e64 v128, v84, v122
	v_sub_f16_e64 v135, v85, v84
	v_add_f16_e64 v141, v84, v122
	v_add_f16_e64 v151, v117, v125
	v_sub_f16_e64 v152, v84, v85
	v_add_f16_e64 v155, v85, v123
	v_fmac_f16_e32 v7, 0x34f2, v27
	v_fmac_f16_e32 v1, 0x34f2, v27
	v_add_f16_e32 v27, v90, v81
	v_add_f16_e32 v90, v117, v113
	v_add_f16_e64 v113, v85, v156
	v_fmamk_f16 v85, v112, 0x3b9c, v83
	v_fmac_f16_e32 v83, 0xbb9c, v112
	v_lshrrev_b32_e32 v130, 16, v13
	v_lshrrev_b32_e32 v153, 16, v15
	v_add_f16_e32 v8, v53, v57
	v_fma_f16 v53, -0.5, v154, v58
	v_fma_f16 v57, -0.5, v157, v76
	v_fma_f16 v157, v12, v99, -v19
	v_fmac_f16_e64 v16, 0x38b4, v145
	v_fmac_f16_e64 v24, 0xb8b4, v145
	v_add_f16_e32 v19, v87, v25
	v_add_f16_e32 v25, v95, v59
	v_fmamk_f16 v58, v111, 0xbb9c, v77
	v_fma_f16 v59, 0x3b9c, v149, v78
	v_fmac_f16_e32 v77, 0x3b9c, v111
	v_fmac_f16_e64 v78, 0xbb9c, v149
	v_add_f16_e32 v91, v91, v93
	v_fma_f16 v84, -0.5, v141, v75
	v_fma_f16 v81, -0.5, v151, v82
	;; [unrolled: 1-line block ×3, first 2 shown]
	v_add_f16_e32 v75, v88, v27
	v_add_f16_e32 v27, v125, v90
	v_fmac_f16_e64 v85, 0xb8b4, v128
	v_fmac_f16_e64 v83, 0x38b4, v128
	v_mul_f16_e64 v79, v71, v130
	v_mul_f16_e64 v80, v73, v153
	v_fma_f16 v76, 0x3b9c, v143, v53
	v_fmac_f16_e64 v53, 0xbb9c, v143
	v_fmac_f16_e32 v16, 0x34f2, v89
	v_fmac_f16_e32 v24, 0x34f2, v89
	v_fmac_f16_e64 v58, 0xb8b4, v143
	v_fmac_f16_e64 v59, 0x38b4, v150
	;; [unrolled: 1-line block ×4, first 2 shown]
	v_add_f16_e32 v89, v109, v27
	ds_load_u16 v27, v56
	v_fmac_f16_e32 v85, 0x34f2, v91
	v_fmac_f16_e32 v83, 0x34f2, v91
	v_mul_f16_e32 v91, v99, v124
	v_sub_f16_e64 v146, v117, v125
	v_fma_f16 v158, v13, v118, -v79
	v_fma_f16 v159, v15, v98, -v80
	v_add_f16_e32 v80, v86, v110
	v_fmac_f16_e32 v76, 0xb8b4, v111
	v_fmac_f16_e32 v53, 0x38b4, v111
	;; [unrolled: 1-line block ×6, first 2 shown]
	v_mul_f16_e64 v94, v98, v153
	v_fmac_f16_e32 v91, v74, v12
	v_mul_f16_e64 v12, v118, v130
	v_mul_f16_e64 v96, v126, v131
	v_fmac_f16_e64 v4, 0xb8b4, v136
	v_fmac_f16_e64 v2, 0x38b4, v136
	v_sub_f16_e64 v136, v123, v122
	v_sub_f16_e64 v148, v109, v125
	v_add_f16_e32 v80, v92, v80
	v_fma_f16 v86, 0xbb9c, v146, v84
	v_fma_f16 v87, 0x3b9c, v128, v81
	v_fmac_f16_e64 v81, 0xbb9c, v128
	v_fmac_f16_e64 v84, 0x3b9c, v146
	v_fmac_f16_e32 v76, 0x34f2, v97
	v_fmac_f16_e32 v53, 0x34f2, v97
	ds_load_u16 v97, v55
	v_sub_f16_e64 v56, v157, v158
	v_sub_f16_e64 v92, v159, v160
	v_fmac_f16_e32 v94, v73, v15
	v_fmac_f16_e32 v12, v71, v13
	v_fmac_f16_e32 v96, v72, v14
	v_add_f16_e64 v93, v135, v136
	v_add_f16_e64 v95, v147, v148
	v_fmac_f16_e64 v86, 0x38b4, v140
	v_fmac_f16_e32 v87, 0x38b4, v112
	v_fmac_f16_e32 v81, 0xb8b4, v112
	v_fmac_f16_e64 v84, 0xb8b4, v140
	v_add_f16_e32 v92, v56, v92
	v_sub_f16_e32 v55, v91, v12
	v_sub_f16_e32 v56, v94, v96
	v_add_f16_e64 v71, v157, v159
	v_fmac_f16_e32 v86, 0x34f2, v93
	v_fmac_f16_e32 v87, 0x34f2, v95
	;; [unrolled: 1-line block ×3, first 2 shown]
	v_add_f16_e64 v95, v158, v160
	v_fmac_f16_e32 v84, 0x34f2, v93
	v_sub_f16_e32 v93, v12, v96
	v_add_f16_e32 v98, v55, v56
	v_add_f16_e32 v55, v91, v94
	s_wait_dscnt 0x1
	v_fma_f16 v71, -0.5, v71, v27
	v_fma_f16 v73, -0.5, v95, v27
	v_sub_f16_e32 v13, v91, v94
	v_sub_f16_e64 v154, v122, v123
	v_fma_f16 v72, -0.5, v55, v69
	v_fmamk_f16 v55, v93, 0x3b9c, v71
	v_fmac_f16_e32 v71, 0xbb9c, v93
	v_fma_f16 v88, 0xbb9c, v140, v82
	v_fmac_f16_e64 v82, 0x3b9c, v140
	v_fmamk_f16 v14, v13, 0xbb9c, v73
	v_fmac_f16_e32 v55, 0xb8b4, v13
	v_fmac_f16_e32 v71, 0x38b4, v13
	;; [unrolled: 1-line block ×3, first 2 shown]
	v_add_f16_e64 v13, v157, v27
	v_add_f16_e64 v110, v152, v154
	v_fmac_f16_e64 v88, 0xb8b4, v146
	v_fmac_f16_e64 v82, 0x38b4, v146
	v_add_f16_e32 v15, v12, v96
	v_sub_f16_e64 v99, v158, v160
	v_add_f16_e64 v13, v158, v13
	v_fmac_f16_e32 v88, 0x34f2, v110
	v_fmac_f16_e32 v82, 0x34f2, v110
	v_fma_f16 v74, -0.5, v15, v69
	v_sub_f16_e64 v95, v157, v159
	v_sub_f16_e64 v109, v158, v157
	;; [unrolled: 1-line block ×3, first 2 shown]
	v_fmamk_f16 v56, v99, 0xbb9c, v72
	v_fmac_f16_e32 v72, 0x3b9c, v99
	v_add_f16_e32 v27, v69, v91
	v_add_f16_e64 v13, v160, v13
	v_fmac_f16_e32 v14, 0xb8b4, v93
	v_fmamk_f16 v15, v95, 0x3b9c, v74
	v_sub_f16_e32 v111, v12, v91
	v_add_f16_e32 v109, v109, v110
	v_fmac_f16_e32 v56, 0x38b4, v95
	v_fmac_f16_e32 v74, 0xbb9c, v95
	;; [unrolled: 1-line block ×4, first 2 shown]
	v_add_f16_e32 v12, v27, v12
	s_wait_loadcnt 0x0
	v_lshrrev_b32_e32 v27, 16, v106
	v_lshrrev_b32_e32 v69, 16, v107
	v_add_f16_e64 v91, v159, v13
	v_lshrrev_b32_e32 v13, 16, v105
	v_lshrrev_b32_e32 v95, 16, v108
	v_sub_f16_e32 v112, v96, v94
	v_fmac_f16_e32 v14, 0x34f2, v92
	v_fmac_f16_e32 v55, 0x34f2, v109
	;; [unrolled: 1-line block ×4, first 2 shown]
	v_add_f16_e32 v12, v12, v96
	v_mul_f16_e32 v92, v67, v27
	v_mul_f16_e32 v93, v68, v69
	v_mul_f16_e32 v96, v70, v13
	v_mul_f16_e32 v109, v66, v95
	v_mul_f16_e32 v13, v100, v13
	v_mul_f16_e32 v95, v120, v95
	v_mul_f16_e32 v27, v119, v27
	v_mul_f16_e32 v69, v127, v69
	v_fma_f16 v79, 0xbb9c, v150, v57
	v_fmac_f16_e64 v57, 0x3b9c, v150
	v_fma_f16 v92, v106, v119, -v92
	v_fma_f16 v93, v107, v127, -v93
	;; [unrolled: 1-line block ×3, first 2 shown]
	v_fmac_f16_e32 v13, v70, v105
	v_fmac_f16_e32 v95, v66, v108
	v_fma_f16 v66, v108, v120, -v109
	v_fmac_f16_e32 v27, v67, v106
	v_fmac_f16_e32 v69, v68, v107
	v_fmac_f16_e64 v79, 0x38b4, v149
	v_fmac_f16_e64 v57, 0xb8b4, v149
	v_add_f16_e32 v90, v113, v123
	v_add_f16_e32 v110, v111, v112
	;; [unrolled: 1-line block ×3, first 2 shown]
	v_sub_f16_e32 v108, v13, v27
	v_sub_f16_e32 v109, v95, v69
	;; [unrolled: 1-line block ×4, first 2 shown]
	v_fmac_f16_e32 v79, 0x34f2, v115
	v_fmac_f16_e32 v57, 0x34f2, v115
	;; [unrolled: 1-line block ×4, first 2 shown]
	s_wait_dscnt 0x0
	v_fma_f16 v70, -0.5, v100, v97
	v_sub_f16_e32 v67, v13, v95
	v_sub_f16_e32 v68, v96, v92
	;; [unrolled: 1-line block ×3, first 2 shown]
	v_add_f16_e32 v105, v27, v69
	v_add_f16_e32 v115, v13, v95
	v_add_f16_e32 v108, v108, v109
	v_add_f16_e32 v109, v112, v113
	v_sub_f16_e32 v113, v27, v13
	v_add_f16_e32 v13, v65, v13
	v_fmac_f16_e32 v15, 0x34f2, v98
	v_fmac_f16_e32 v74, 0x34f2, v98
	ds_load_u16 v98, v54 offset:1540
	ds_load_u16 v99, v54 offset:770
	v_add_f16_e32 v68, v68, v100
	v_fma_f16 v100, -0.5, v105, v65
	v_sub_f16_e32 v105, v96, v66
	v_add_f16_e32 v107, v96, v66
	v_add_f16_e32 v96, v96, v97
	;; [unrolled: 1-line block ×4, first 2 shown]
	v_fmamk_f16 v106, v67, 0xbb9c, v70
	v_sub_f16_e32 v12, v27, v69
	v_fma_f16 v107, -0.5, v107, v97
	v_fma_f16 v112, -0.5, v115, v65
	v_add_f16_e32 v65, v92, v96
	v_fmac_f16_e32 v70, 0x3b9c, v67
	v_add_f16_e32 v13, v13, v69
	v_fmac_f16_e32 v106, 0xb8b4, v12
	v_sub_f16_e32 v111, v92, v93
	v_fmamk_f16 v116, v12, 0x3b9c, v107
	v_fmac_f16_e32 v107, 0xbb9c, v12
	v_add_f16_e32 v27, v93, v65
	v_fmac_f16_e32 v70, 0x38b4, v12
	v_add_f16_e32 v92, v95, v13
	v_lshrrev_b32_e32 v12, 16, v102
	v_lshrrev_b32_e32 v13, 16, v103
	ds_load_u16 v54, v54
	v_fmac_f16_e32 v116, 0xb8b4, v67
	v_sub_f16_e32 v115, v69, v95
	v_fmac_f16_e32 v107, 0x38b4, v67
	v_add_f16_e32 v27, v66, v27
	v_lshrrev_b32_e32 v65, 16, v101
	v_mul_f16_e32 v66, v61, v12
	v_mul_f16_e32 v67, v63, v13
	v_lshrrev_b32_e32 v69, 16, v104
	v_fmac_f16_e32 v106, 0x34f2, v68
	v_fmac_f16_e32 v70, 0x34f2, v68
	v_mul_f16_e32 v68, v62, v65
	s_wait_dscnt 0x2
	v_fma_f16 v66, v102, v98, -v66
	v_fma_f16 v67, v103, v114, -v67
	v_mul_f16_e32 v93, v64, v69
	v_mul_f16_e32 v69, v121, v69
	s_wait_dscnt 0x1
	v_fma_f16 v68, v101, v99, -v68
	v_mul_f16_e32 v65, v99, v65
	v_add_f16_e32 v95, v66, v67
	v_mul_f16_e32 v12, v98, v12
	v_mul_f16_e32 v13, v114, v13
	v_fmac_f16_e32 v69, v64, v104
	v_fma_f16 v64, v104, v121, -v93
	v_fmac_f16_e32 v56, 0x34f2, v110
	v_fmac_f16_e32 v72, 0x34f2, v110
	v_fmamk_f16 v110, v105, 0x3b9c, v100
	v_fmac_f16_e32 v100, 0xbb9c, v105
	v_fmac_f16_e32 v65, v62, v101
	;; [unrolled: 1-line block ×4, first 2 shown]
	s_wait_dscnt 0x0
	v_fma_f16 v93, -0.5, v95, v54
	v_sub_f16_e32 v62, v68, v66
	v_sub_f16_e32 v95, v64, v67
	v_add_f16_e32 v102, v68, v64
	v_fmac_f16_e32 v110, 0x38b4, v111
	v_fmamk_f16 v117, v111, 0xbb9c, v112
	v_fmac_f16_e32 v112, 0x3b9c, v111
	v_fmac_f16_e32 v100, 0xb8b4, v111
	v_sub_f16_e32 v97, v12, v13
	v_add_f16_e32 v95, v62, v95
	v_sub_f16_e32 v62, v65, v12
	v_sub_f16_e32 v99, v69, v13
	v_fma_f16 v102, -0.5, v102, v54
	v_fmac_f16_e32 v110, 0x34f2, v108
	v_fmac_f16_e32 v117, 0x38b4, v105
	;; [unrolled: 1-line block ×3, first 2 shown]
	v_sub_f16_e32 v61, v65, v69
	v_fmac_f16_e32 v100, 0x34f2, v108
	v_add_f16_e32 v99, v62, v99
	v_sub_f16_e32 v62, v66, v68
	v_sub_f16_e32 v105, v67, v64
	v_fmamk_f16 v108, v97, 0x3b9c, v102
	v_fmac_f16_e32 v102, 0xbb9c, v97
	v_add_f16_e32 v104, v65, v69
	v_add_f16_e32 v63, v12, v13
	;; [unrolled: 1-line block ×3, first 2 shown]
	v_fmac_f16_e32 v108, 0xb8b4, v61
	v_fmac_f16_e32 v102, 0x38b4, v61
	v_add_f16_e32 v113, v113, v115
	v_sub_f16_e32 v103, v66, v67
	v_fma_f16 v104, -0.5, v104, v60
	v_fmamk_f16 v96, v61, 0xbb9c, v93
	v_fma_f16 v98, -0.5, v63, v60
	v_fmac_f16_e32 v108, 0x34f2, v62
	v_fmac_f16_e32 v102, 0x34f2, v62
	;; [unrolled: 1-line block ×3, first 2 shown]
	v_add_f16_e32 v62, v60, v65
	v_mad_co_u64_u32 v[60:61], null, s8, v50, 0
	v_fmac_f16_e32 v117, 0x34f2, v113
	v_fmac_f16_e32 v112, 0x34f2, v113
	v_sub_f16_e32 v63, v68, v64
	v_fmamk_f16 v113, v103, 0xbb9c, v104
	v_fmac_f16_e32 v104, 0x3b9c, v103
	v_add_f16_e32 v54, v68, v54
	v_fmac_f16_e32 v116, 0x34f2, v109
	v_fmac_f16_e32 v107, 0x34f2, v109
	v_fmamk_f16 v101, v63, 0x3b9c, v98
	v_sub_f16_e32 v109, v12, v65
	v_fmac_f16_e32 v113, 0x38b4, v63
	v_fmac_f16_e32 v104, 0xb8b4, v63
	;; [unrolled: 1-line block ×3, first 2 shown]
	v_add_f16_e32 v65, v62, v12
	v_mad_co_u64_u32 v[62:63], null, s8, v52, 0
	v_mov_b32_e32 v12, v61
	v_add_f16_e32 v54, v66, v54
	v_sub_f16_e32 v111, v13, v69
	v_add_f16_e32 v61, v65, v13
	v_fmac_f16_e32 v93, 0x38b4, v97
	v_mad_co_u64_u32 v[12:13], null, s9, v50, v[12:13]
	v_add_f16_e32 v54, v67, v54
	v_mov_b32_e32 v13, v63
	v_add_f16_e32 v66, v69, v61
	v_fmac_f16_e32 v98, 0xb8b4, v103
	v_fmac_f16_e32 v93, 0x34f2, v95
	v_add_f16_e32 v54, v64, v54
	v_mad_co_u64_u32 v[63:64], null, s9, v52, v[13:14]
	v_mad_co_u64_u32 v[64:65], null, s8, v51, 0
	v_mov_b32_e32 v61, v12
	v_add_co_u32 v12, vcc_lo, s10, v20
	s_wait_alu 0xfffd
	v_add_co_ci_u32_e32 v13, vcc_lo, s11, v21, vcc_lo
	s_delay_alu instid0(VALU_DEP_3)
	v_lshlrev_b64_e32 v[20:21], 2, v[60:61]
	v_mad_co_u64_u32 v[60:61], null, s8, v48, 0
	v_mov_b32_e32 v50, v65
	v_lshlrev_b64_e32 v[62:63], 2, v[62:63]
	v_fmac_f16_e32 v98, 0x34f2, v99
	v_add_co_u32 v20, vcc_lo, v12, v20
	s_delay_alu instid0(VALU_DEP_4) | instskip(SKIP_4) | instid1(VALU_DEP_3)
	v_mad_co_u64_u32 v[50:51], null, s9, v51, v[50:51]
	v_mov_b32_e32 v51, v61
	s_wait_alu 0xfffd
	v_add_co_ci_u32_e32 v21, vcc_lo, v13, v21, vcc_lo
	v_add_co_u32 v61, vcc_lo, v12, v62
	v_mad_co_u64_u32 v[51:52], null, s9, v48, v[51:52]
	v_pack_b32_f16 v54, v66, v54
	s_wait_alu 0xfffd
	v_add_co_ci_u32_e32 v62, vcc_lo, v13, v63, vcc_lo
	v_pack_b32_f16 v48, v98, v93
	v_mad_co_u64_u32 v[66:67], null, s8, v49, 0
	v_mov_b32_e32 v65, v50
	s_clause 0x1
	global_store_b32 v[20:21], v54, off
	global_store_b32 v[61:62], v48, off
	v_mov_b32_e32 v61, v51
	v_add_f16_e32 v105, v109, v111
	v_lshlrev_b64_e32 v[62:63], 2, v[64:65]
	v_mov_b32_e32 v20, v67
	v_fma_f16 v18, 0xbb9c, v145, v22
	v_lshlrev_b64_e32 v[60:61], 2, v[60:61]
	v_fmac_f16_e32 v104, 0x34f2, v105
	v_fmac_f16_e32 v113, 0x34f2, v105
	v_add_co_u32 v50, vcc_lo, v12, v62
	v_mad_co_u64_u32 v[20:21], null, s9, v49, v[20:21]
	v_mad_co_u64_u32 v[48:49], null, s8, v45, 0
	s_wait_alu 0xfffd
	v_add_co_ci_u32_e32 v51, vcc_lo, v13, v63, vcc_lo
	v_add_co_u32 v60, vcc_lo, v12, v60
	v_pack_b32_f16 v52, v104, v102
	s_wait_alu 0xfffd
	v_add_co_ci_u32_e32 v61, vcc_lo, v13, v61, vcc_lo
	v_pack_b32_f16 v54, v113, v108
	v_fmac_f16_e64 v22, 0x3b9c, v145
	v_mov_b32_e32 v67, v20
	v_mad_co_u64_u32 v[62:63], null, s8, v47, 0
	s_clause 0x1
	global_store_b32 v[50:51], v52, off
	global_store_b32 v[60:61], v54, off
	v_mad_co_u64_u32 v[51:52], null, s8, v43, 0
	v_mov_b32_e32 v20, v49
	v_fmac_f16_e64 v22, 0xb8b4, v144
	v_fmac_f16_e32 v96, 0xb8b4, v97
	v_fmac_f16_e32 v101, 0x38b4, v103
	v_lshlrev_b64_e32 v[64:65], 2, v[66:67]
	v_mad_co_u64_u32 v[20:21], null, s9, v45, v[20:21]
	v_mad_co_u64_u32 v[66:67], null, s8, v46, 0
	v_fmac_f16_e64 v22, 0x34f2, v142
	v_fmac_f16_e32 v96, 0x34f2, v95
	v_fmac_f16_e32 v101, 0x34f2, v99
	v_mov_b32_e32 v21, v63
	v_add_co_u32 v63, vcc_lo, v12, v64
	s_wait_alu 0xfffd
	v_add_co_ci_u32_e32 v64, vcc_lo, v13, v65, vcc_lo
	s_delay_alu instid0(VALU_DEP_3)
	v_mad_co_u64_u32 v[68:69], null, s9, v47, v[21:22]
	v_pack_b32_f16 v21, v101, v96
	v_dual_mov_b32 v49, v20 :: v_dual_mov_b32 v20, v67
	v_pack_b32_f16 v27, v92, v27
	v_pack_b32_f16 v54, v100, v70
	global_store_b32 v[63:64], v21, off
	v_mov_b32_e32 v63, v68
	v_mad_co_u64_u32 v[20:21], null, s9, v46, v[20:21]
	v_mad_co_u64_u32 v[45:46], null, s8, v44, 0
	v_lshlrev_b64_e32 v[47:48], 2, v[48:49]
	s_delay_alu instid0(VALU_DEP_4)
	v_lshlrev_b64_e32 v[49:50], 2, v[62:63]
	v_mad_co_u64_u32 v[62:63], null, s8, v41, 0
	v_mov_b32_e32 v67, v20
	v_add_f16_e32 v90, v90, v122
	v_mov_b32_e32 v20, v46
	v_add_co_u32 v47, vcc_lo, v12, v47
	s_delay_alu instid0(VALU_DEP_4)
	v_lshlrev_b64_e32 v[60:61], 2, v[66:67]
	s_wait_alu 0xfffd
	v_add_co_ci_u32_e32 v48, vcc_lo, v13, v48, vcc_lo
	v_mad_co_u64_u32 v[20:21], null, s9, v44, v[20:21]
	v_add_co_u32 v49, vcc_lo, v12, v49
	v_mov_b32_e32 v21, v52
	s_wait_alu 0xfffd
	v_add_co_ci_u32_e32 v50, vcc_lo, v13, v50, vcc_lo
	v_add_co_u32 v60, vcc_lo, v12, v60
	s_wait_alu 0xfffd
	v_add_co_ci_u32_e32 v61, vcc_lo, v13, v61, vcc_lo
	v_mad_co_u64_u32 v[43:44], null, s9, v43, v[21:22]
	v_pack_b32_f16 v21, v112, v107
	v_mov_b32_e32 v46, v20
	v_mov_b32_e32 v20, v63
	s_clause 0x1
	global_store_b32 v[47:48], v27, off
	global_store_b32 v[49:50], v54, off
	v_pack_b32_f16 v27, v117, v116
	global_store_b32 v[60:61], v21, off
	v_pack_b32_f16 v54, v72, v71
	v_mad_co_u64_u32 v[20:21], null, s9, v41, v[20:21]
	v_fma_f16 v10, 0xbb9c, v137, v23
	v_fmac_f16_e64 v23, 0x3b9c, v137
	v_fma_f16 v17, 0x3b9c, v138, v11
	v_fmac_f16_e64 v11, 0xbb9c, v138
	v_fmac_f16_e64 v18, 0x38b4, v144
	v_fmac_f16_e64 v10, 0xb8b4, v138
	v_mov_b32_e32 v63, v20
	v_lshlrev_b64_e32 v[44:45], 2, v[45:46]
	v_mad_co_u64_u32 v[46:47], null, s8, v42, 0
	v_fmac_f16_e64 v23, 0x38b4, v138
	s_delay_alu instid0(VALU_DEP_4)
	v_lshlrev_b64_e32 v[60:61], 2, v[62:63]
	v_fmac_f16_e64 v11, 0x38b4, v137
	v_fmac_f16_e64 v17, 0xb8b4, v137
	;; [unrolled: 1-line block ×4, first 2 shown]
	v_mov_b32_e32 v20, v47
	v_fmac_f16_e64 v11, 0x34f2, v139
	v_fmac_f16_e64 v17, 0x34f2, v139
	;; [unrolled: 1-line block ×4, first 2 shown]
	v_mad_co_u64_u32 v[20:21], null, s9, v42, v[20:21]
	v_mov_b32_e32 v52, v43
	v_add_co_u32 v43, vcc_lo, v12, v44
	s_wait_alu 0xfffd
	v_add_co_ci_u32_e32 v44, vcc_lo, v13, v45, vcc_lo
	v_mad_co_u64_u32 v[41:42], null, s8, v40, 0
	v_mov_b32_e32 v47, v20
	v_lshlrev_b64_e32 v[48:49], 2, v[51:52]
	v_mad_co_u64_u32 v[50:51], null, s8, v39, 0
	v_pack_b32_f16 v45, v110, v106
	v_pack_b32_f16 v11, v22, v11
	v_mov_b32_e32 v20, v42
	v_add_co_u32 v48, vcc_lo, v12, v48
	s_wait_alu 0xfffd
	v_add_co_ci_u32_e32 v49, vcc_lo, v13, v49, vcc_lo
	v_mov_b32_e32 v21, v51
	v_add_co_u32 v51, vcc_lo, v12, v60
	s_wait_alu 0xfffd
	v_add_co_ci_u32_e32 v52, vcc_lo, v13, v61, vcc_lo
	s_delay_alu instid0(VALU_DEP_3)
	v_mad_co_u64_u32 v[60:61], null, s9, v39, v[21:22]
	v_pack_b32_f16 v21, v94, v91
	s_clause 0x1
	global_store_b32 v[43:44], v27, off
	global_store_b32 v[48:49], v45, off
	v_lshlrev_b64_e32 v[42:43], 2, v[46:47]
	v_pack_b32_f16 v27, v74, v73
	v_mad_co_u64_u32 v[48:49], null, s8, v35, 0
	global_store_b32 v[51:52], v21, off
	v_mov_b32_e32 v51, v60
	v_mad_co_u64_u32 v[20:21], null, s9, v40, v[20:21]
	v_mad_co_u64_u32 v[39:40], null, s8, v38, 0
	s_delay_alu instid0(VALU_DEP_3) | instskip(SKIP_4) | instid1(VALU_DEP_4)
	v_lshlrev_b64_e32 v[46:47], 2, v[50:51]
	v_add_co_u32 v44, vcc_lo, v12, v42
	s_wait_alu 0xfffd
	v_add_co_ci_u32_e32 v45, vcc_lo, v13, v43, vcc_lo
	v_mov_b32_e32 v42, v20
	v_add_co_u32 v46, vcc_lo, v12, v46
	v_mov_b32_e32 v20, v40
	s_wait_alu 0xfffd
	v_add_co_ci_u32_e32 v47, vcc_lo, v13, v47, vcc_lo
	s_clause 0x1
	global_store_b32 v[44:45], v27, off
	global_store_b32 v[46:47], v54, off
	v_mad_co_u64_u32 v[20:21], null, s9, v38, v[20:21]
	v_pack_b32_f16 v27, v15, v14
	v_mad_co_u64_u32 v[14:15], null, s8, v36, 0
	v_lshlrev_b64_e32 v[40:41], 2, v[41:42]
	v_mov_b32_e32 v21, v49
	v_mad_co_u64_u32 v[42:43], null, s8, v37, 0
	v_pack_b32_f16 v47, v90, v89
	v_pack_b32_f16 v17, v18, v17
	v_add_co_u32 v49, vcc_lo, v12, v40
	v_mad_co_u64_u32 v[51:52], null, s9, v35, v[21:22]
	v_mad_co_u64_u32 v[35:36], null, s9, v36, v[15:16]
	v_mov_b32_e32 v40, v20
	s_wait_alu 0xfffd
	v_add_co_ci_u32_e32 v50, vcc_lo, v13, v41, vcc_lo
	v_pack_b32_f16 v21, v56, v55
	v_mov_b32_e32 v20, v43
	v_lshlrev_b64_e32 v[38:39], 2, v[39:40]
	v_mul_hi_u32 v36, 0x551c979b, v32
	v_fmac_f16_e64 v3, 0x34f2, v133
	global_store_b32 v[49:50], v21, off
	v_mov_b32_e32 v49, v51
	v_mad_co_u64_u32 v[20:21], null, s9, v37, v[20:21]
	v_add_co_u32 v37, vcc_lo, v12, v38
	s_wait_alu 0xfffd
	v_add_co_ci_u32_e32 v38, vcc_lo, v13, v39, vcc_lo
	v_lshlrev_b64_e32 v[39:40], 2, v[48:49]
	v_pack_b32_f16 v48, v88, v87
	v_mov_b32_e32 v43, v20
	global_store_b32 v[37:38], v27, off
	v_lshrrev_b32_e32 v27, 7, v36
	v_fmac_f16_e64 v0, 0x34f2, v134
	v_add_co_u32 v20, vcc_lo, v12, v39
	s_wait_alu 0xfffd
	v_add_co_ci_u32_e32 v21, vcc_lo, v13, v40, vcc_lo
	v_lshlrev_b64_e32 v[39:40], 2, v[42:43]
	v_mad_co_u64_u32 v[41:42], null, s8, v34, 0
	v_mad_co_u64_u32 v[43:44], null, s8, v33, 0
	v_mad_u32_u24 v27, 0x604, v27, v32
	s_delay_alu instid0(VALU_DEP_4)
	v_add_co_u32 v39, vcc_lo, v12, v39
	s_wait_alu 0xfffd
	v_add_co_ci_u32_e32 v40, vcc_lo, v13, v40, vcc_lo
	v_mov_b32_e32 v15, v42
	s_clause 0x1
	global_store_b32 v[20:21], v47, off
	global_store_b32 v[39:40], v48, off
	v_mov_b32_e32 v20, v44
	v_add_nc_u32_e32 v48, 0x302, v27
	v_mad_co_u64_u32 v[45:46], null, s9, v34, v[15:16]
	v_mov_b32_e32 v15, v35
	s_delay_alu instid0(VALU_DEP_4) | instskip(SKIP_1) | instid1(VALU_DEP_3)
	v_mad_co_u64_u32 v[20:21], null, s9, v33, v[20:21]
	v_mad_co_u64_u32 v[34:35], null, s8, v27, 0
	v_lshlrev_b64_e32 v[14:15], 2, v[14:15]
	v_mov_b32_e32 v42, v45
	v_add_nc_u32_e32 v46, 0x181, v27
	v_pack_b32_f16 v45, v84, v83
	v_mov_b32_e32 v44, v20
	v_pack_b32_f16 v47, v86, v85
	v_lshlrev_b64_e32 v[32:33], 2, v[41:42]
	v_add_co_u32 v14, vcc_lo, v12, v14
	v_mad_co_u64_u32 v[37:38], null, s8, v46, 0
	s_wait_alu 0xfffd
	v_add_co_ci_u32_e32 v15, vcc_lo, v13, v15, vcc_lo
	s_delay_alu instid0(VALU_DEP_4)
	v_add_co_u32 v20, vcc_lo, v12, v32
	v_mov_b32_e32 v32, v35
	v_lshlrev_b64_e32 v[35:36], 2, v[43:44]
	v_mad_co_u64_u32 v[41:42], null, s8, v48, 0
	s_wait_alu 0xfffd
	v_add_co_ci_u32_e32 v21, vcc_lo, v13, v33, vcc_lo
	v_mad_co_u64_u32 v[32:33], null, s9, v27, v[32:33]
	s_delay_alu instid0(VALU_DEP_4)
	v_add_co_u32 v39, vcc_lo, v12, v35
	v_mov_b32_e32 v33, v38
	s_wait_alu 0xfffd
	v_add_co_ci_u32_e32 v40, vcc_lo, v13, v36, vcc_lo
	v_pack_b32_f16 v36, v82, v81
	s_clause 0x2
	global_store_b32 v[14:15], v45, off
	global_store_b32 v[20:21], v47, off
	;; [unrolled: 1-line block ×3, first 2 shown]
	v_mad_co_u64_u32 v[43:44], null, s9, v46, v[33:34]
	v_mov_b32_e32 v14, v42
	v_dual_mov_b32 v35, v32 :: v_dual_add_nc_u32 v40, 0x483, v27
	v_add_nc_u32_e32 v27, 0x604, v27
	v_pack_b32_f16 v44, v80, v75
	s_delay_alu instid0(VALU_DEP_4) | instskip(NEXT) | instid1(VALU_DEP_4)
	v_mad_co_u64_u32 v[14:15], null, s9, v48, v[14:15]
	v_mad_co_u64_u32 v[32:33], null, s8, v40, 0
	v_mov_b32_e32 v38, v43
	v_lshlrev_b64_e32 v[20:21], 2, v[34:35]
	v_pack_b32_f16 v45, v78, v77
	v_fmac_f16_e64 v6, 0x34f2, v134
	v_mov_b32_e32 v42, v14
	v_lshlrev_b64_e32 v[34:35], 2, v[37:38]
	v_mov_b32_e32 v14, v33
	v_mad_co_u64_u32 v[36:37], null, s8, v27, 0
	v_add_co_u32 v20, vcc_lo, v12, v20
	v_lshlrev_b64_e32 v[38:39], 2, v[41:42]
	s_delay_alu instid0(VALU_DEP_4)
	v_mad_co_u64_u32 v[14:15], null, s9, v40, v[14:15]
	v_mad_co_u64_u32 v[40:41], null, s8, v31, 0
	s_wait_alu 0xfffd
	v_add_co_ci_u32_e32 v21, vcc_lo, v13, v21, vcc_lo
	v_add_co_u32 v34, vcc_lo, v12, v34
	v_mov_b32_e32 v15, v37
	s_wait_alu 0xfffd
	v_add_co_ci_u32_e32 v35, vcc_lo, v13, v35, vcc_lo
	v_add_co_u32 v37, vcc_lo, v12, v38
	s_wait_alu 0xfffd
	v_add_co_ci_u32_e32 v38, vcc_lo, v13, v39, vcc_lo
	v_mad_co_u64_u32 v[42:43], null, s9, v27, v[15:16]
	v_pack_b32_f16 v15, v57, v53
	v_dual_mov_b32 v33, v14 :: v_dual_mov_b32 v14, v41
	s_clause 0x1
	global_store_b32 v[20:21], v44, off
	global_store_b32 v[34:35], v45, off
	v_pack_b32_f16 v27, v79, v76
	global_store_b32 v[37:38], v15, off
	v_lshlrev_b64_e32 v[20:21], 2, v[32:33]
	v_mad_co_u64_u32 v[14:15], null, s9, v31, v[14:15]
	v_mad_co_u64_u32 v[31:32], null, s8, v30, 0
	v_mov_b32_e32 v37, v42
	s_delay_alu instid0(VALU_DEP_4) | instskip(SKIP_2) | instid1(VALU_DEP_3)
	v_add_co_u32 v20, vcc_lo, v12, v20
	s_wait_alu 0xfffd
	v_add_co_ci_u32_e32 v21, vcc_lo, v13, v21, vcc_lo
	v_lshlrev_b64_e32 v[33:34], 2, v[36:37]
	v_dual_mov_b32 v41, v14 :: v_dual_mov_b32 v14, v32
	v_mad_co_u64_u32 v[35:36], null, s8, v29, 0
	v_pack_b32_f16 v42, v59, v58
	s_delay_alu instid0(VALU_DEP_3) | instskip(NEXT) | instid1(VALU_DEP_4)
	v_lshlrev_b64_e32 v[37:38], 2, v[40:41]
	v_mad_co_u64_u32 v[14:15], null, s9, v30, v[14:15]
	v_mad_co_u64_u32 v[39:40], null, s8, v28, 0
	v_add_co_u32 v33, vcc_lo, v12, v33
	v_mov_b32_e32 v15, v36
	s_wait_alu 0xfffd
	v_add_co_ci_u32_e32 v34, vcc_lo, v13, v34, vcc_lo
	v_add_co_u32 v36, vcc_lo, v12, v37
	s_wait_alu 0xfffd
	v_add_co_ci_u32_e32 v37, vcc_lo, v13, v38, vcc_lo
	v_mad_co_u64_u32 v[29:30], null, s9, v29, v[15:16]
	v_pack_b32_f16 v15, v25, v19
	v_mov_b32_e32 v32, v14
	v_mov_b32_e32 v14, v40
	s_clause 0x1
	global_store_b32 v[20:21], v27, off
	global_store_b32 v[33:34], v42, off
	v_mul_hi_u32 v21, 0x551c979b, v26
	global_store_b32 v[36:37], v15, off
	v_mov_b32_e32 v36, v29
	v_mad_co_u64_u32 v[14:15], null, s9, v28, v[14:15]
	scratch_load_b32 v15, off, off th:TH_LOAD_LU ; 4-byte Folded Reload
	v_lshlrev_b64_e32 v[19:20], 2, v[31:32]
	v_lshlrev_b64_e32 v[30:31], 2, v[35:36]
	v_pack_b32_f16 v25, v24, v23
	v_pack_b32_f16 v16, v16, v10
	v_fmac_f16_e64 v4, 0x34f2, v132
	v_mov_b32_e32 v40, v14
	v_add_co_u32 v19, vcc_lo, v12, v19
	s_wait_alu 0xfffd
	v_add_co_ci_u32_e32 v20, vcc_lo, v13, v20, vcc_lo
	v_add_co_u32 v23, vcc_lo, v12, v30
	s_wait_alu 0xfffd
	v_add_co_ci_u32_e32 v24, vcc_lo, v13, v31, vcc_lo
	v_fmac_f16_e64 v5, 0x34f2, v133
	v_pack_b32_f16 v6, v7, v6
	s_delay_alu instid0(VALU_DEP_2) | instskip(SKIP_2) | instid1(VALU_DEP_1)
	v_pack_b32_f16 v4, v5, v4
	s_wait_loadcnt 0x0
	v_mad_co_u64_u32 v[28:29], null, s8, v15, 0
	v_mov_b32_e32 v14, v29
	v_lshlrev_b64_e32 v[29:30], 2, v[39:40]
	s_delay_alu instid0(VALU_DEP_2) | instskip(SKIP_1) | instid1(VALU_DEP_3)
	v_mad_co_u64_u32 v[14:15], null, s9, v15, v[14:15]
	v_lshrrev_b32_e32 v15, 7, v21
	v_add_co_u32 v21, vcc_lo, v12, v29
	s_wait_alu 0xfffd
	s_delay_alu instid0(VALU_DEP_4) | instskip(NEXT) | instid1(VALU_DEP_3)
	v_add_co_ci_u32_e32 v22, vcc_lo, v13, v30, vcc_lo
	v_mad_u32_u24 v26, 0x604, v15, v26
	s_clause 0x2
	global_store_b32 v[19:20], v25, off
	global_store_b32 v[23:24], v11, off
	;; [unrolled: 1-line block ×3, first 2 shown]
	v_mov_b32_e32 v29, v14
	v_add_nc_u32_e32 v25, 0x181, v26
	v_mad_co_u64_u32 v[17:18], null, s8, v26, 0
	v_add_nc_u32_e32 v27, 0x302, v26
	s_delay_alu instid0(VALU_DEP_4) | instskip(NEXT) | instid1(VALU_DEP_4)
	v_lshlrev_b64_e32 v[14:15], 2, v[28:29]
	v_mad_co_u64_u32 v[19:20], null, s8, v25, 0
	v_add_nc_u32_e32 v28, 0x483, v26
	s_delay_alu instid0(VALU_DEP_4)
	v_mad_co_u64_u32 v[21:22], null, s8, v27, 0
	v_mov_b32_e32 v11, v18
	v_add_co_u32 v14, vcc_lo, v12, v14
	v_mov_b32_e32 v18, v20
	s_wait_alu 0xfffd
	v_add_co_ci_u32_e32 v15, vcc_lo, v13, v15, vcc_lo
	v_mad_co_u64_u32 v[23:24], null, s9, v26, v[11:12]
	s_delay_alu instid0(VALU_DEP_3)
	v_mad_co_u64_u32 v[10:11], null, s9, v25, v[18:19]
	v_mov_b32_e32 v11, v22
	v_mad_co_u64_u32 v[24:25], null, s8, v28, 0
	global_store_b32 v[14:15], v16, off
	v_mov_b32_e32 v18, v23
	v_mad_co_u64_u32 v[22:23], null, s9, v27, v[11:12]
	v_dual_mov_b32 v20, v10 :: v_dual_add_nc_u32 v23, 0x604, v26
	s_delay_alu instid0(VALU_DEP_3) | instskip(SKIP_2) | instid1(VALU_DEP_4)
	v_lshlrev_b64_e32 v[14:15], 2, v[17:18]
	v_mov_b32_e32 v10, v25
	v_pack_b32_f16 v26, v9, v8
	v_mad_co_u64_u32 v[16:17], null, s8, v23, 0
	v_lshlrev_b64_e32 v[8:9], 2, v[19:20]
	s_delay_alu instid0(VALU_DEP_4)
	v_mad_co_u64_u32 v[10:11], null, s9, v28, v[10:11]
	v_lshlrev_b64_e32 v[18:19], 2, v[21:22]
	v_add_co_u32 v14, vcc_lo, v12, v14
	v_mov_b32_e32 v11, v17
	s_wait_alu 0xfffd
	v_add_co_ci_u32_e32 v15, vcc_lo, v13, v15, vcc_lo
	v_mov_b32_e32 v25, v10
	v_add_co_u32 v8, vcc_lo, v12, v8
	v_mad_co_u64_u32 v[20:21], null, s9, v23, v[11:12]
	v_pack_b32_f16 v21, v3, v2
	s_delay_alu instid0(VALU_DEP_4)
	v_lshlrev_b64_e32 v[2:3], 2, v[24:25]
	s_wait_alu 0xfffd
	v_add_co_ci_u32_e32 v9, vcc_lo, v13, v9, vcc_lo
	v_add_co_u32 v10, vcc_lo, v12, v18
	v_mov_b32_e32 v17, v20
	v_pack_b32_f16 v18, v1, v0
	s_wait_alu 0xfffd
	v_add_co_ci_u32_e32 v11, vcc_lo, v13, v19, vcc_lo
	v_add_co_u32 v2, vcc_lo, v12, v2
	v_lshlrev_b64_e32 v[0:1], 2, v[16:17]
	s_wait_alu 0xfffd
	v_add_co_ci_u32_e32 v3, vcc_lo, v13, v3, vcc_lo
	s_delay_alu instid0(VALU_DEP_2) | instskip(SKIP_1) | instid1(VALU_DEP_3)
	v_add_co_u32 v0, vcc_lo, v12, v0
	s_wait_alu 0xfffd
	v_add_co_ci_u32_e32 v1, vcc_lo, v13, v1, vcc_lo
	s_clause 0x4
	global_store_b32 v[14:15], v26, off
	global_store_b32 v[8:9], v21, off
	;; [unrolled: 1-line block ×5, first 2 shown]
.LBB0_23:
	s_nop 0
	s_sendmsg sendmsg(MSG_DEALLOC_VGPRS)
	s_endpgm
	.section	.rodata,"a",@progbits
	.p2align	6, 0x0
	.amdhsa_kernel fft_rtc_back_len1925_factors_7_11_5_5_wgs_55_tpt_55_halfLds_half_ip_CI_sbrr_dirReg
		.amdhsa_group_segment_fixed_size 0
		.amdhsa_private_segment_fixed_size 8
		.amdhsa_kernarg_size 88
		.amdhsa_user_sgpr_count 2
		.amdhsa_user_sgpr_dispatch_ptr 0
		.amdhsa_user_sgpr_queue_ptr 0
		.amdhsa_user_sgpr_kernarg_segment_ptr 1
		.amdhsa_user_sgpr_dispatch_id 0
		.amdhsa_user_sgpr_private_segment_size 0
		.amdhsa_wavefront_size32 1
		.amdhsa_uses_dynamic_stack 0
		.amdhsa_enable_private_segment 1
		.amdhsa_system_sgpr_workgroup_id_x 1
		.amdhsa_system_sgpr_workgroup_id_y 0
		.amdhsa_system_sgpr_workgroup_id_z 0
		.amdhsa_system_sgpr_workgroup_info 0
		.amdhsa_system_vgpr_workitem_id 0
		.amdhsa_next_free_vgpr 256
		.amdhsa_next_free_sgpr 35
		.amdhsa_reserve_vcc 1
		.amdhsa_float_round_mode_32 0
		.amdhsa_float_round_mode_16_64 0
		.amdhsa_float_denorm_mode_32 3
		.amdhsa_float_denorm_mode_16_64 3
		.amdhsa_fp16_overflow 0
		.amdhsa_workgroup_processor_mode 1
		.amdhsa_memory_ordered 1
		.amdhsa_forward_progress 0
		.amdhsa_round_robin_scheduling 0
		.amdhsa_exception_fp_ieee_invalid_op 0
		.amdhsa_exception_fp_denorm_src 0
		.amdhsa_exception_fp_ieee_div_zero 0
		.amdhsa_exception_fp_ieee_overflow 0
		.amdhsa_exception_fp_ieee_underflow 0
		.amdhsa_exception_fp_ieee_inexact 0
		.amdhsa_exception_int_div_zero 0
	.end_amdhsa_kernel
	.text
.Lfunc_end0:
	.size	fft_rtc_back_len1925_factors_7_11_5_5_wgs_55_tpt_55_halfLds_half_ip_CI_sbrr_dirReg, .Lfunc_end0-fft_rtc_back_len1925_factors_7_11_5_5_wgs_55_tpt_55_halfLds_half_ip_CI_sbrr_dirReg
                                        ; -- End function
	.section	.AMDGPU.csdata,"",@progbits
; Kernel info:
; codeLenInByte = 33500
; NumSgprs: 37
; NumVgprs: 256
; ScratchSize: 8
; MemoryBound: 0
; FloatMode: 240
; IeeeMode: 1
; LDSByteSize: 0 bytes/workgroup (compile time only)
; SGPRBlocks: 4
; VGPRBlocks: 31
; NumSGPRsForWavesPerEU: 37
; NumVGPRsForWavesPerEU: 256
; Occupancy: 5
; WaveLimiterHint : 1
; COMPUTE_PGM_RSRC2:SCRATCH_EN: 1
; COMPUTE_PGM_RSRC2:USER_SGPR: 2
; COMPUTE_PGM_RSRC2:TRAP_HANDLER: 0
; COMPUTE_PGM_RSRC2:TGID_X_EN: 1
; COMPUTE_PGM_RSRC2:TGID_Y_EN: 0
; COMPUTE_PGM_RSRC2:TGID_Z_EN: 0
; COMPUTE_PGM_RSRC2:TIDIG_COMP_CNT: 0
	.text
	.p2alignl 7, 3214868480
	.fill 96, 4, 3214868480
	.type	__hip_cuid_48cec3b872e5abb6,@object ; @__hip_cuid_48cec3b872e5abb6
	.section	.bss,"aw",@nobits
	.globl	__hip_cuid_48cec3b872e5abb6
__hip_cuid_48cec3b872e5abb6:
	.byte	0                               ; 0x0
	.size	__hip_cuid_48cec3b872e5abb6, 1

	.ident	"AMD clang version 19.0.0git (https://github.com/RadeonOpenCompute/llvm-project roc-6.4.0 25133 c7fe45cf4b819c5991fe208aaa96edf142730f1d)"
	.section	".note.GNU-stack","",@progbits
	.addrsig
	.addrsig_sym __hip_cuid_48cec3b872e5abb6
	.amdgpu_metadata
---
amdhsa.kernels:
  - .args:
      - .actual_access:  read_only
        .address_space:  global
        .offset:         0
        .size:           8
        .value_kind:     global_buffer
      - .offset:         8
        .size:           8
        .value_kind:     by_value
      - .actual_access:  read_only
        .address_space:  global
        .offset:         16
        .size:           8
        .value_kind:     global_buffer
      - .actual_access:  read_only
        .address_space:  global
        .offset:         24
        .size:           8
        .value_kind:     global_buffer
      - .offset:         32
        .size:           8
        .value_kind:     by_value
      - .actual_access:  read_only
        .address_space:  global
        .offset:         40
        .size:           8
        .value_kind:     global_buffer
      - .actual_access:  read_only
        .address_space:  global
        .offset:         48
        .size:           8
        .value_kind:     global_buffer
      - .offset:         56
        .size:           4
        .value_kind:     by_value
      - .actual_access:  read_only
        .address_space:  global
        .offset:         64
        .size:           8
        .value_kind:     global_buffer
      - .actual_access:  read_only
        .address_space:  global
        .offset:         72
        .size:           8
        .value_kind:     global_buffer
      - .address_space:  global
        .offset:         80
        .size:           8
        .value_kind:     global_buffer
    .group_segment_fixed_size: 0
    .kernarg_segment_align: 8
    .kernarg_segment_size: 88
    .language:       OpenCL C
    .language_version:
      - 2
      - 0
    .max_flat_workgroup_size: 55
    .name:           fft_rtc_back_len1925_factors_7_11_5_5_wgs_55_tpt_55_halfLds_half_ip_CI_sbrr_dirReg
    .private_segment_fixed_size: 8
    .sgpr_count:     37
    .sgpr_spill_count: 0
    .symbol:         fft_rtc_back_len1925_factors_7_11_5_5_wgs_55_tpt_55_halfLds_half_ip_CI_sbrr_dirReg.kd
    .uniform_work_group_size: 1
    .uses_dynamic_stack: false
    .vgpr_count:     256
    .vgpr_spill_count: 1
    .wavefront_size: 32
    .workgroup_processor_mode: 1
amdhsa.target:   amdgcn-amd-amdhsa--gfx1201
amdhsa.version:
  - 1
  - 2
...

	.end_amdgpu_metadata
